;; amdgpu-corpus repo=ROCm/rocFFT kind=compiled arch=gfx1030 opt=O3
	.text
	.amdgcn_target "amdgcn-amd-amdhsa--gfx1030"
	.amdhsa_code_object_version 6
	.protected	fft_rtc_back_len825_factors_11_5_5_3_wgs_55_tpt_55_dp_op_CI_CI_unitstride_sbrr_dirReg ; -- Begin function fft_rtc_back_len825_factors_11_5_5_3_wgs_55_tpt_55_dp_op_CI_CI_unitstride_sbrr_dirReg
	.globl	fft_rtc_back_len825_factors_11_5_5_3_wgs_55_tpt_55_dp_op_CI_CI_unitstride_sbrr_dirReg
	.p2align	8
	.type	fft_rtc_back_len825_factors_11_5_5_3_wgs_55_tpt_55_dp_op_CI_CI_unitstride_sbrr_dirReg,@function
fft_rtc_back_len825_factors_11_5_5_3_wgs_55_tpt_55_dp_op_CI_CI_unitstride_sbrr_dirReg: ; @fft_rtc_back_len825_factors_11_5_5_3_wgs_55_tpt_55_dp_op_CI_CI_unitstride_sbrr_dirReg
; %bb.0:
	s_clause 0x2
	s_load_dwordx4 s[12:15], s[4:5], 0x0
	s_load_dwordx4 s[8:11], s[4:5], 0x58
	;; [unrolled: 1-line block ×3, first 2 shown]
	v_mul_u32_u24_e32 v1, 0x4a8, v0
	v_mov_b32_e32 v3, 0
	v_add_nc_u32_sdwa v5, s6, v1 dst_sel:DWORD dst_unused:UNUSED_PAD src0_sel:DWORD src1_sel:WORD_1
	v_mov_b32_e32 v1, 0
	v_mov_b32_e32 v6, v3
	v_mov_b32_e32 v2, 0
	s_waitcnt lgkmcnt(0)
	v_cmp_lt_u64_e64 s0, s[14:15], 2
	s_and_b32 vcc_lo, exec_lo, s0
	s_cbranch_vccnz .LBB0_8
; %bb.1:
	s_load_dwordx2 s[0:1], s[4:5], 0x10
	v_mov_b32_e32 v1, 0
	v_mov_b32_e32 v2, 0
	s_add_u32 s2, s18, 8
	s_addc_u32 s3, s19, 0
	s_add_u32 s6, s16, 8
	s_addc_u32 s7, s17, 0
	v_mov_b32_e32 v69, v2
	v_mov_b32_e32 v68, v1
	s_mov_b64 s[22:23], 1
	s_waitcnt lgkmcnt(0)
	s_add_u32 s20, s0, 8
	s_addc_u32 s21, s1, 0
.LBB0_2:                                ; =>This Inner Loop Header: Depth=1
	s_load_dwordx2 s[24:25], s[20:21], 0x0
                                        ; implicit-def: $vgpr71_vgpr72
	s_mov_b32 s0, exec_lo
	s_waitcnt lgkmcnt(0)
	v_or_b32_e32 v4, s25, v6
	v_cmpx_ne_u64_e32 0, v[3:4]
	s_xor_b32 s1, exec_lo, s0
	s_cbranch_execz .LBB0_4
; %bb.3:                                ;   in Loop: Header=BB0_2 Depth=1
	v_cvt_f32_u32_e32 v4, s24
	v_cvt_f32_u32_e32 v7, s25
	s_sub_u32 s0, 0, s24
	s_subb_u32 s26, 0, s25
	v_fmac_f32_e32 v4, 0x4f800000, v7
	v_rcp_f32_e32 v4, v4
	v_mul_f32_e32 v4, 0x5f7ffffc, v4
	v_mul_f32_e32 v7, 0x2f800000, v4
	v_trunc_f32_e32 v7, v7
	v_fmac_f32_e32 v4, 0xcf800000, v7
	v_cvt_u32_f32_e32 v7, v7
	v_cvt_u32_f32_e32 v4, v4
	v_mul_lo_u32 v8, s0, v7
	v_mul_hi_u32 v9, s0, v4
	v_mul_lo_u32 v10, s26, v4
	v_add_nc_u32_e32 v8, v9, v8
	v_mul_lo_u32 v9, s0, v4
	v_add_nc_u32_e32 v8, v8, v10
	v_mul_hi_u32 v10, v4, v9
	v_mul_lo_u32 v11, v4, v8
	v_mul_hi_u32 v12, v4, v8
	v_mul_hi_u32 v13, v7, v9
	v_mul_lo_u32 v9, v7, v9
	v_mul_hi_u32 v14, v7, v8
	v_mul_lo_u32 v8, v7, v8
	v_add_co_u32 v10, vcc_lo, v10, v11
	v_add_co_ci_u32_e32 v11, vcc_lo, 0, v12, vcc_lo
	v_add_co_u32 v9, vcc_lo, v10, v9
	v_add_co_ci_u32_e32 v9, vcc_lo, v11, v13, vcc_lo
	v_add_co_ci_u32_e32 v10, vcc_lo, 0, v14, vcc_lo
	v_add_co_u32 v8, vcc_lo, v9, v8
	v_add_co_ci_u32_e32 v9, vcc_lo, 0, v10, vcc_lo
	v_add_co_u32 v4, vcc_lo, v4, v8
	v_add_co_ci_u32_e32 v7, vcc_lo, v7, v9, vcc_lo
	v_mul_hi_u32 v8, s0, v4
	v_mul_lo_u32 v10, s26, v4
	v_mul_lo_u32 v9, s0, v7
	v_add_nc_u32_e32 v8, v8, v9
	v_mul_lo_u32 v9, s0, v4
	v_add_nc_u32_e32 v8, v8, v10
	v_mul_hi_u32 v10, v4, v9
	v_mul_lo_u32 v11, v4, v8
	v_mul_hi_u32 v12, v4, v8
	v_mul_hi_u32 v13, v7, v9
	v_mul_lo_u32 v9, v7, v9
	v_mul_hi_u32 v14, v7, v8
	v_mul_lo_u32 v8, v7, v8
	v_add_co_u32 v10, vcc_lo, v10, v11
	v_add_co_ci_u32_e32 v11, vcc_lo, 0, v12, vcc_lo
	v_add_co_u32 v9, vcc_lo, v10, v9
	v_add_co_ci_u32_e32 v9, vcc_lo, v11, v13, vcc_lo
	v_add_co_ci_u32_e32 v10, vcc_lo, 0, v14, vcc_lo
	v_add_co_u32 v8, vcc_lo, v9, v8
	v_add_co_ci_u32_e32 v9, vcc_lo, 0, v10, vcc_lo
	v_add_co_u32 v4, vcc_lo, v4, v8
	v_add_co_ci_u32_e32 v11, vcc_lo, v7, v9, vcc_lo
	v_mul_hi_u32 v13, v5, v4
	v_mad_u64_u32 v[9:10], null, v6, v4, 0
	v_mad_u64_u32 v[7:8], null, v5, v11, 0
	;; [unrolled: 1-line block ×3, first 2 shown]
	v_add_co_u32 v4, vcc_lo, v13, v7
	v_add_co_ci_u32_e32 v7, vcc_lo, 0, v8, vcc_lo
	v_add_co_u32 v4, vcc_lo, v4, v9
	v_add_co_ci_u32_e32 v4, vcc_lo, v7, v10, vcc_lo
	v_add_co_ci_u32_e32 v7, vcc_lo, 0, v12, vcc_lo
	v_add_co_u32 v4, vcc_lo, v4, v11
	v_add_co_ci_u32_e32 v9, vcc_lo, 0, v7, vcc_lo
	v_mul_lo_u32 v10, s25, v4
	v_mad_u64_u32 v[7:8], null, s24, v4, 0
	v_mul_lo_u32 v11, s24, v9
	v_sub_co_u32 v7, vcc_lo, v5, v7
	v_add3_u32 v8, v8, v11, v10
	v_sub_nc_u32_e32 v10, v6, v8
	v_subrev_co_ci_u32_e64 v10, s0, s25, v10, vcc_lo
	v_add_co_u32 v11, s0, v4, 2
	v_add_co_ci_u32_e64 v12, s0, 0, v9, s0
	v_sub_co_u32 v13, s0, v7, s24
	v_sub_co_ci_u32_e32 v8, vcc_lo, v6, v8, vcc_lo
	v_subrev_co_ci_u32_e64 v10, s0, 0, v10, s0
	v_cmp_le_u32_e32 vcc_lo, s24, v13
	v_cmp_eq_u32_e64 s0, s25, v8
	v_cndmask_b32_e64 v13, 0, -1, vcc_lo
	v_cmp_le_u32_e32 vcc_lo, s25, v10
	v_cndmask_b32_e64 v14, 0, -1, vcc_lo
	v_cmp_le_u32_e32 vcc_lo, s24, v7
	;; [unrolled: 2-line block ×3, first 2 shown]
	v_cndmask_b32_e64 v15, 0, -1, vcc_lo
	v_cmp_eq_u32_e32 vcc_lo, s25, v10
	v_cndmask_b32_e64 v7, v15, v7, s0
	v_cndmask_b32_e32 v10, v14, v13, vcc_lo
	v_add_co_u32 v13, vcc_lo, v4, 1
	v_add_co_ci_u32_e32 v14, vcc_lo, 0, v9, vcc_lo
	v_cmp_ne_u32_e32 vcc_lo, 0, v10
	v_cndmask_b32_e32 v8, v14, v12, vcc_lo
	v_cndmask_b32_e32 v10, v13, v11, vcc_lo
	v_cmp_ne_u32_e32 vcc_lo, 0, v7
	v_cndmask_b32_e32 v72, v9, v8, vcc_lo
	v_cndmask_b32_e32 v71, v4, v10, vcc_lo
.LBB0_4:                                ;   in Loop: Header=BB0_2 Depth=1
	s_andn2_saveexec_b32 s0, s1
	s_cbranch_execz .LBB0_6
; %bb.5:                                ;   in Loop: Header=BB0_2 Depth=1
	v_cvt_f32_u32_e32 v4, s24
	s_sub_i32 s1, 0, s24
	v_mov_b32_e32 v72, v3
	v_rcp_iflag_f32_e32 v4, v4
	v_mul_f32_e32 v4, 0x4f7ffffe, v4
	v_cvt_u32_f32_e32 v4, v4
	v_mul_lo_u32 v7, s1, v4
	v_mul_hi_u32 v7, v4, v7
	v_add_nc_u32_e32 v4, v4, v7
	v_mul_hi_u32 v4, v5, v4
	v_mul_lo_u32 v7, v4, s24
	v_add_nc_u32_e32 v8, 1, v4
	v_sub_nc_u32_e32 v7, v5, v7
	v_subrev_nc_u32_e32 v9, s24, v7
	v_cmp_le_u32_e32 vcc_lo, s24, v7
	v_cndmask_b32_e32 v7, v7, v9, vcc_lo
	v_cndmask_b32_e32 v4, v4, v8, vcc_lo
	v_cmp_le_u32_e32 vcc_lo, s24, v7
	v_add_nc_u32_e32 v8, 1, v4
	v_cndmask_b32_e32 v71, v4, v8, vcc_lo
.LBB0_6:                                ;   in Loop: Header=BB0_2 Depth=1
	s_or_b32 exec_lo, exec_lo, s0
	v_mul_lo_u32 v4, v72, s24
	v_mul_lo_u32 v9, v71, s25
	s_load_dwordx2 s[0:1], s[6:7], 0x0
	v_mad_u64_u32 v[7:8], null, v71, s24, 0
	s_load_dwordx2 s[24:25], s[2:3], 0x0
	s_add_u32 s22, s22, 1
	s_addc_u32 s23, s23, 0
	s_add_u32 s2, s2, 8
	s_addc_u32 s3, s3, 0
	s_add_u32 s6, s6, 8
	v_add3_u32 v4, v8, v9, v4
	v_sub_co_u32 v5, vcc_lo, v5, v7
	s_addc_u32 s7, s7, 0
	s_add_u32 s20, s20, 8
	v_sub_co_ci_u32_e32 v4, vcc_lo, v6, v4, vcc_lo
	s_addc_u32 s21, s21, 0
	s_waitcnt lgkmcnt(0)
	v_mul_lo_u32 v6, s0, v4
	v_mul_lo_u32 v7, s1, v5
	v_mad_u64_u32 v[1:2], null, s0, v5, v[1:2]
	v_mul_lo_u32 v4, s24, v4
	v_mul_lo_u32 v8, s25, v5
	v_mad_u64_u32 v[68:69], null, s24, v5, v[68:69]
	v_cmp_ge_u64_e64 s0, s[22:23], s[14:15]
	v_add3_u32 v2, v7, v2, v6
	v_add3_u32 v69, v8, v69, v4
	s_and_b32 vcc_lo, exec_lo, s0
	s_cbranch_vccnz .LBB0_9
; %bb.7:                                ;   in Loop: Header=BB0_2 Depth=1
	v_mov_b32_e32 v5, v71
	v_mov_b32_e32 v6, v72
	s_branch .LBB0_2
.LBB0_8:
	v_mov_b32_e32 v69, v2
	v_mov_b32_e32 v72, v6
	;; [unrolled: 1-line block ×4, first 2 shown]
.LBB0_9:
	s_load_dwordx2 s[0:1], s[4:5], 0x28
	v_mul_hi_u32 v3, 0x4a7904b, v0
	s_lshl_b64 s[4:5], s[14:15], 3
                                        ; implicit-def: $vgpr70
                                        ; implicit-def: $vgpr90
	s_add_u32 s2, s18, s4
	s_addc_u32 s3, s19, s5
	s_waitcnt lgkmcnt(0)
	v_cmp_gt_u64_e32 vcc_lo, s[0:1], v[71:72]
	v_cmp_le_u64_e64 s0, s[0:1], v[71:72]
	s_and_saveexec_b32 s1, s0
	s_xor_b32 s0, exec_lo, s1
; %bb.10:
	v_mul_u32_u24_e32 v1, 55, v3
                                        ; implicit-def: $vgpr3
	v_sub_nc_u32_e32 v70, v0, v1
                                        ; implicit-def: $vgpr0
                                        ; implicit-def: $vgpr1_vgpr2
	v_add_nc_u32_e32 v90, 55, v70
; %bb.11:
	s_andn2_saveexec_b32 s1, s0
	s_cbranch_execz .LBB0_13
; %bb.12:
	s_add_u32 s4, s16, s4
	s_addc_u32 s5, s17, s5
	v_lshlrev_b64 v[1:2], 4, v[1:2]
	s_load_dwordx2 s[4:5], s[4:5], 0x0
	s_waitcnt lgkmcnt(0)
	v_mul_lo_u32 v6, s5, v71
	v_mul_lo_u32 v7, s4, v72
	v_mad_u64_u32 v[4:5], null, s4, v71, 0
	v_add3_u32 v5, v5, v7, v6
	v_mul_u32_u24_e32 v6, 55, v3
	v_lshlrev_b64 v[3:4], 4, v[4:5]
	v_sub_nc_u32_e32 v70, v0, v6
	v_lshlrev_b32_e32 v60, 4, v70
	v_add_co_u32 v0, s0, s8, v3
	v_add_co_ci_u32_e64 v3, s0, s9, v4, s0
	v_add_nc_u32_e32 v90, 55, v70
	v_add_co_u32 v0, s0, v0, v1
	v_add_co_ci_u32_e64 v1, s0, v3, v2, s0
	v_add_co_u32 v8, s0, v0, v60
	v_add_co_ci_u32_e64 v9, s0, 0, v1, s0
	s_clause 0x1
	global_load_dwordx4 v[0:3], v[8:9], off
	global_load_dwordx4 v[4:7], v[8:9], off offset:880
	v_add_co_u32 v16, s0, 0x800, v8
	v_add_co_ci_u32_e64 v17, s0, 0, v9, s0
	v_add_co_u32 v24, s0, 0x1000, v8
	v_add_co_ci_u32_e64 v25, s0, 0, v9, s0
	;; [unrolled: 2-line block ×6, first 2 shown]
	s_clause 0xc
	global_load_dwordx4 v[8:11], v[8:9], off offset:1760
	global_load_dwordx4 v[12:15], v[16:17], off offset:592
	;; [unrolled: 1-line block ×13, first 2 shown]
	v_add_nc_u32_e32 v60, 0, v60
	s_waitcnt vmcnt(14)
	ds_write_b128 v60, v[0:3]
	s_waitcnt vmcnt(13)
	ds_write_b128 v60, v[4:7] offset:880
	s_waitcnt vmcnt(12)
	ds_write_b128 v60, v[8:11] offset:1760
	;; [unrolled: 2-line block ×14, first 2 shown]
.LBB0_13:
	s_or_b32 exec_lo, exec_lo, s1
	v_lshl_add_u32 v89, v70, 4, 0
	s_load_dwordx2 s[2:3], s[2:3], 0x0
	s_waitcnt lgkmcnt(0)
	s_barrier
	buffer_gl0_inv
	ds_read_b128 v[44:47], v89 offset:1200
	ds_read_b128 v[28:31], v89
	ds_read_b128 v[0:3], v89 offset:880
	ds_read_b128 v[12:15], v89 offset:2080
	;; [unrolled: 1-line block ×4, first 2 shown]
	s_mov_b32 s24, 0xf8bb580b
	s_mov_b32 s22, 0x8eee2c13
	;; [unrolled: 1-line block ×16, first 2 shown]
	s_waitcnt lgkmcnt(4)
	v_add_f64 v[4:5], v[28:29], v[44:45]
	v_add_f64 v[6:7], v[30:31], v[46:47]
	s_mov_b32 s19, 0x3fda9628
	s_mov_b32 s9, 0xbfc2375f
	;; [unrolled: 1-line block ×14, first 2 shown]
	s_waitcnt lgkmcnt(1)
	v_add_f64 v[16:17], v[4:5], v[56:57]
	v_add_f64 v[18:19], v[6:7], v[58:59]
	ds_read_b128 v[60:63], v89 offset:3600
	ds_read_b128 v[4:7], v89 offset:4480
	;; [unrolled: 1-line block ×8, first 2 shown]
	s_waitcnt lgkmcnt(7)
	v_add_f64 v[16:17], v[16:17], v[60:61]
	v_add_f64 v[18:19], v[18:19], v[62:63]
	s_waitcnt lgkmcnt(4)
	v_add_f64 v[95:96], v[46:47], -v[54:55]
	v_add_f64 v[46:47], v[46:47], v[54:55]
	s_waitcnt lgkmcnt(1)
	v_add_f64 v[101:102], v[73:74], v[77:78]
	v_add_f64 v[103:104], v[75:76], v[79:80]
	;; [unrolled: 1-line block ×3, first 2 shown]
	v_add_f64 v[44:45], v[44:45], -v[52:53]
	s_waitcnt lgkmcnt(0)
	v_add_f64 v[105:106], v[64:65], v[81:82]
	v_add_f64 v[107:108], v[66:67], v[83:84]
	;; [unrolled: 1-line block ×4, first 2 shown]
	ds_read_b128 v[85:88], v89 offset:10800
	ds_read_b128 v[91:94], v89 offset:9600
	;; [unrolled: 1-line block ×4, first 2 shown]
	v_mul_f64 v[117:118], v[95:96], s[24:25]
	v_mul_f64 v[119:120], v[46:47], s[4:5]
	;; [unrolled: 1-line block ×7, first 2 shown]
	v_add_f64 v[64:65], v[64:65], -v[81:82]
	v_add_f64 v[66:67], v[66:67], -v[83:84]
	ds_read_b128 v[48:51], v89 offset:8080
	s_waitcnt lgkmcnt(4)
	v_add_f64 v[109:110], v[58:59], -v[87:88]
	v_add_f64 v[58:59], v[58:59], v[87:88]
	s_waitcnt lgkmcnt(3)
	v_add_f64 v[111:112], v[62:63], -v[93:94]
	v_add_f64 v[97:98], v[32:33], v[73:74]
	v_add_f64 v[99:100], v[34:35], v[75:76]
	v_add_f64 v[73:74], v[73:74], -v[77:78]
	v_add_f64 v[75:76], v[75:76], -v[79:80]
	v_add_f64 v[62:63], v[62:63], v[93:94]
	v_add_f64 v[121:122], v[56:57], v[85:86]
	v_add_f64 v[56:57], v[56:57], -v[85:86]
	v_fma_f64 v[143:144], v[115:116], s[4:5], v[117:118]
	v_fma_f64 v[117:118], v[115:116], s[4:5], -v[117:118]
	v_fma_f64 v[145:146], v[44:45], s[28:29], v[119:120]
	v_fma_f64 v[119:120], v[44:45], s[24:25], v[119:120]
	;; [unrolled: 1-line block ×4, first 2 shown]
	v_fma_f64 v[123:124], v[115:116], s[6:7], -v[123:124]
	v_fma_f64 v[125:126], v[44:45], s[22:23], v[125:126]
	v_fma_f64 v[153:154], v[44:45], s[30:31], v[127:128]
	;; [unrolled: 1-line block ×3, first 2 shown]
	v_add_f64 v[113:114], v[60:61], v[91:92]
	v_add_f64 v[60:61], v[60:61], -v[91:92]
	v_mul_f64 v[131:132], v[109:110], s[22:23]
	v_mul_f64 v[133:134], v[58:59], s[18:19]
	;; [unrolled: 1-line block ×3, first 2 shown]
	v_add_f64 v[77:78], v[97:98], v[77:78]
	v_add_f64 v[79:80], v[99:100], v[79:80]
	v_mul_f64 v[97:98], v[95:96], s[22:23]
	v_mul_f64 v[99:100], v[95:96], s[20:21]
	;; [unrolled: 1-line block ×6, first 2 shown]
	v_add_f64 v[143:144], v[28:29], v[143:144]
	v_add_f64 v[145:146], v[30:31], v[145:146]
	;; [unrolled: 1-line block ×10, first 2 shown]
	ds_read_b128 v[40:43], v89 offset:9280
	ds_read_b128 v[36:39], v89 offset:10480
	;; [unrolled: 1-line block ×3, first 2 shown]
	s_waitcnt lgkmcnt(0)
	v_fma_f64 v[157:158], v[56:57], s[36:37], v[133:134]
	s_barrier
	v_add_f64 v[77:78], v[77:78], v[81:82]
	v_add_f64 v[79:80], v[79:80], v[83:84]
	v_fma_f64 v[81:82], v[115:116], s[18:19], v[97:98]
	v_fma_f64 v[83:84], v[115:116], s[18:19], -v[97:98]
	v_fma_f64 v[97:98], v[115:116], s[8:9], v[99:100]
	v_fma_f64 v[99:100], v[115:116], s[8:9], -v[99:100]
	;; [unrolled: 2-line block ×3, first 2 shown]
	v_fma_f64 v[115:116], v[44:45], s[20:21], v[127:128]
	v_fma_f64 v[127:128], v[44:45], s[0:1], v[129:130]
	;; [unrolled: 1-line block ×5, first 2 shown]
	buffer_gl0_inv
	v_add_f64 v[145:146], v[157:158], v[145:146]
	v_mul_f64 v[157:158], v[62:63], s[26:27]
	v_add_f64 v[77:78], v[77:78], v[91:92]
	v_add_f64 v[79:80], v[79:80], v[93:94]
	v_fma_f64 v[91:92], v[121:122], s[6:7], v[135:136]
	v_fma_f64 v[93:94], v[56:57], s[0:1], v[137:138]
	v_add_f64 v[81:82], v[28:29], v[81:82]
	v_add_f64 v[83:84], v[28:29], v[83:84]
	;; [unrolled: 1-line block ×10, first 2 shown]
	v_mul_f64 v[44:45], v[111:112], s[20:21]
	v_fma_f64 v[95:96], v[121:122], s[6:7], -v[135:136]
	v_mul_f64 v[135:136], v[62:63], s[8:9]
	v_add_f64 v[46:47], v[46:47], v[143:144]
	v_fma_f64 v[143:144], v[56:57], s[14:15], v[141:142]
	v_fma_f64 v[141:142], v[56:57], s[34:35], v[141:142]
	v_add_f64 v[77:78], v[77:78], v[85:86]
	v_add_f64 v[79:80], v[79:80], v[87:88]
	v_mul_f64 v[85:86], v[111:112], s[34:35]
	v_fma_f64 v[87:88], v[56:57], s[16:17], v[137:138]
	v_fma_f64 v[137:138], v[121:122], s[26:27], v[139:140]
	v_fma_f64 v[139:140], v[121:122], s[26:27], -v[139:140]
	v_add_f64 v[81:82], v[91:92], v[81:82]
	v_mul_f64 v[91:92], v[111:112], s[36:37]
	v_add_f64 v[93:94], v[93:94], v[149:150]
	v_fma_f64 v[149:150], v[113:114], s[8:9], v[44:45]
	v_add_f64 v[83:84], v[95:96], v[83:84]
	v_fma_f64 v[95:96], v[60:61], s[30:31], v[135:136]
	v_fma_f64 v[44:45], v[113:114], s[8:9], -v[44:45]
	v_add_f64 v[143:144], v[143:144], v[153:154]
	v_fma_f64 v[153:154], v[60:61], s[14:15], v[157:158]
	v_fma_f64 v[157:158], v[60:61], s[34:35], v[157:158]
	v_add_f64 v[115:116], v[141:142], v[115:116]
	v_mul_f64 v[141:142], v[66:67], s[24:25]
	v_add_f64 v[87:88], v[87:88], v[125:126]
	v_mul_f64 v[125:126], v[66:67], s[16:17]
	v_add_f64 v[97:98], v[137:138], v[97:98]
	v_fma_f64 v[137:138], v[113:114], s[26:27], v[85:86]
	v_add_f64 v[99:100], v[139:140], v[99:100]
	v_mul_f64 v[139:140], v[62:63], s[18:19]
	v_fma_f64 v[85:86], v[113:114], s[26:27], -v[85:86]
	v_add_f64 v[46:47], v[149:150], v[46:47]
	v_fma_f64 v[149:150], v[113:114], s[18:19], v[91:92]
	v_add_f64 v[95:96], v[95:96], v[145:146]
	v_mul_f64 v[145:146], v[107:108], s[6:7]
	v_fma_f64 v[91:92], v[113:114], s[18:19], -v[91:92]
	v_add_f64 v[93:94], v[153:154], v[93:94]
	v_add_f64 v[87:88], v[157:158], v[87:88]
	v_fma_f64 v[157:158], v[105:106], s[6:7], v[125:126]
	v_add_f64 v[81:82], v[137:138], v[81:82]
	v_mul_f64 v[137:138], v[66:67], s[30:31]
	v_fma_f64 v[153:154], v[60:61], s[22:23], v[139:140]
	v_add_f64 v[83:84], v[85:86], v[83:84]
	v_mul_f64 v[85:86], v[107:108], s[8:9]
	v_fma_f64 v[139:140], v[60:61], s[36:37], v[139:140]
	v_add_f64 v[97:98], v[149:150], v[97:98]
	v_fma_f64 v[149:150], v[64:65], s[0:1], v[145:146]
	v_add_f64 v[91:92], v[91:92], v[99:100]
	v_add_f64 v[46:47], v[157:158], v[46:47]
	;; [unrolled: 1-line block ×3, first 2 shown]
	v_fma_f64 v[153:154], v[105:106], s[8:9], v[137:138]
	v_fma_f64 v[157:158], v[64:65], s[20:21], v[85:86]
	v_fma_f64 v[137:138], v[105:106], s[8:9], -v[137:138]
	v_fma_f64 v[85:86], v[64:65], s[30:31], v[85:86]
	v_add_f64 v[115:116], v[139:140], v[115:116]
	v_add_f64 v[95:96], v[149:150], v[95:96]
	v_mul_f64 v[149:150], v[109:110], s[30:31]
	v_mul_f64 v[109:110], v[109:110], s[28:29]
	v_add_f64 v[81:82], v[153:154], v[81:82]
	v_mul_f64 v[153:154], v[58:59], s[8:9]
	v_add_f64 v[93:94], v[157:158], v[93:94]
	v_add_f64 v[83:84], v[137:138], v[83:84]
	;; [unrolled: 1-line block ×3, first 2 shown]
	v_mul_f64 v[58:59], v[58:59], s[4:5]
	v_fma_f64 v[157:158], v[121:122], s[8:9], v[149:150]
	v_fma_f64 v[149:150], v[121:122], s[8:9], -v[149:150]
	v_fma_f64 v[99:100], v[121:122], s[4:5], v[109:110]
	v_fma_f64 v[109:110], v[121:122], s[4:5], -v[109:110]
	v_fma_f64 v[121:122], v[121:122], s[18:19], -v[131:132]
	v_fma_f64 v[137:138], v[56:57], s[20:21], v[153:154]
	v_fma_f64 v[153:154], v[56:57], s[30:31], v[153:154]
	;; [unrolled: 1-line block ×5, first 2 shown]
	v_add_f64 v[147:148], v[157:158], v[147:148]
	v_mul_f64 v[157:158], v[107:108], s[4:5]
	v_add_f64 v[99:100], v[99:100], v[151:152]
	v_mul_f64 v[151:152], v[66:67], s[14:15]
	v_add_f64 v[28:29], v[109:110], v[28:29]
	v_add_f64 v[123:124], v[149:150], v[123:124]
	v_add_f64 v[117:118], v[121:122], v[117:118]
	v_mul_f64 v[66:67], v[66:67], s[36:37]
	v_mul_f64 v[149:150], v[75:76], s[28:29]
	v_add_f64 v[127:128], v[137:138], v[127:128]
	v_fma_f64 v[137:138], v[105:106], s[4:5], v[141:142]
	v_add_f64 v[129:130], v[153:154], v[129:130]
	v_mul_f64 v[153:154], v[103:104], s[4:5]
	v_add_f64 v[131:132], v[131:132], v[155:156]
	v_mul_f64 v[155:156], v[107:108], s[26:27]
	v_add_f64 v[30:31], v[58:59], v[30:31]
	v_add_f64 v[56:57], v[56:57], v[119:120]
	v_mul_f64 v[107:108], v[107:108], s[18:19]
	v_fma_f64 v[87:88], v[64:65], s[28:29], v[157:158]
	v_fma_f64 v[141:142], v[105:106], s[4:5], -v[141:142]
	v_fma_f64 v[157:158], v[64:65], s[24:25], v[157:158]
	v_add_f64 v[44:45], v[44:45], v[117:118]
	v_fma_f64 v[117:118], v[105:106], s[18:19], v[66:67]
	v_fma_f64 v[66:67], v[105:106], s[18:19], -v[66:67]
	v_add_f64 v[97:98], v[137:138], v[97:98]
	v_mul_f64 v[137:138], v[111:112], s[24:25]
	v_mul_f64 v[111:112], v[111:112], s[16:17]
	v_add_f64 v[87:88], v[87:88], v[143:144]
	v_mul_f64 v[143:144], v[62:63], s[4:5]
	v_mul_f64 v[62:63], v[62:63], s[6:7]
	v_add_f64 v[91:92], v[141:142], v[91:92]
	v_add_f64 v[115:116], v[157:158], v[115:116]
	v_fma_f64 v[133:134], v[113:114], s[4:5], v[137:138]
	v_fma_f64 v[109:110], v[113:114], s[6:7], v[111:112]
	v_fma_f64 v[111:112], v[113:114], s[6:7], -v[111:112]
	v_fma_f64 v[137:138], v[113:114], s[4:5], -v[137:138]
	v_mul_f64 v[113:114], v[75:76], s[16:17]
	v_fma_f64 v[139:140], v[60:61], s[28:29], v[143:144]
	v_fma_f64 v[143:144], v[60:61], s[24:25], v[143:144]
	;; [unrolled: 1-line block ×6, first 2 shown]
	v_fma_f64 v[149:150], v[101:102], s[4:5], -v[149:150]
	v_add_f64 v[133:134], v[133:134], v[147:148]
	v_mul_f64 v[147:148], v[75:76], s[14:15]
	v_add_f64 v[99:100], v[109:110], v[99:100]
	v_fma_f64 v[109:110], v[105:106], s[26:27], v[151:152]
	v_add_f64 v[28:29], v[111:112], v[28:29]
	v_mul_f64 v[111:112], v[75:76], s[36:37]
	v_add_f64 v[123:124], v[137:138], v[123:124]
	v_fma_f64 v[151:152], v[105:106], s[26:27], -v[151:152]
	v_add_f64 v[127:128], v[139:140], v[127:128]
	v_mul_f64 v[139:140], v[103:104], s[26:27]
	v_add_f64 v[129:130], v[143:144], v[129:130]
	v_mul_f64 v[143:144], v[103:104], s[6:7]
	v_add_f64 v[58:59], v[58:59], v[131:132]
	v_fma_f64 v[131:132], v[64:65], s[34:35], v[155:156]
	v_add_f64 v[30:31], v[62:63], v[30:31]
	v_mul_f64 v[62:63], v[103:104], s[18:19]
	v_add_f64 v[56:57], v[60:61], v[56:57]
	v_fma_f64 v[60:61], v[64:65], s[22:23], v[107:108]
	v_mul_f64 v[75:76], v[75:76], s[20:21]
	v_mul_f64 v[103:104], v[103:104], s[8:9]
	v_fma_f64 v[155:156], v[64:65], s[14:15], v[155:156]
	v_fma_f64 v[107:108], v[64:65], s[36:37], v[107:108]
	v_fma_f64 v[105:106], v[105:106], s[6:7], -v[125:126]
	v_fma_f64 v[64:65], v[64:65], s[16:17], v[145:146]
	v_fma_f64 v[121:122], v[101:102], s[26:27], v[147:148]
	;; [unrolled: 1-line block ×4, first 2 shown]
	v_add_f64 v[109:110], v[109:110], v[133:134]
	v_add_f64 v[99:100], v[117:118], v[99:100]
	;; [unrolled: 1-line block ×4, first 2 shown]
	v_fma_f64 v[119:120], v[73:74], s[34:35], v[139:140]
	v_fma_f64 v[153:154], v[73:74], s[28:29], v[153:154]
	;; [unrolled: 1-line block ×4, first 2 shown]
	v_add_f64 v[127:128], v[131:132], v[127:128]
	v_fma_f64 v[131:132], v[101:102], s[18:19], v[111:112]
	v_fma_f64 v[133:134], v[73:74], s[22:23], v[62:63]
	v_fma_f64 v[111:112], v[101:102], s[18:19], -v[111:112]
	v_add_f64 v[117:118], v[60:61], v[58:59]
	v_fma_f64 v[143:144], v[101:102], s[8:9], v[75:76]
	v_fma_f64 v[151:152], v[73:74], s[30:31], v[103:104]
	v_add_f64 v[129:130], v[155:156], v[129:130]
	v_add_f64 v[107:108], v[107:108], v[30:31]
	v_fma_f64 v[155:156], v[101:102], s[8:9], -v[75:76]
	v_fma_f64 v[103:104], v[73:74], s[20:21], v[103:104]
	v_fma_f64 v[157:158], v[73:74], s[36:37], v[62:63]
	v_fma_f64 v[113:114], v[101:102], s[6:7], -v[113:114]
	v_add_f64 v[105:106], v[105:106], v[44:45]
	v_add_f64 v[159:160], v[64:65], v[56:57]
	v_fma_f64 v[101:102], v[101:102], s[26:27], -v[147:148]
	v_fma_f64 v[139:140], v[73:74], s[14:15], v[139:140]
	v_add_f64 v[28:29], v[77:78], v[52:53]
	v_add_f64 v[30:31], v[79:80], v[54:55]
	;; [unrolled: 1-line block ×22, first 2 shown]
	v_mad_u32_u24 v91, 0xa0, v70, v89
	s_mov_b32 s1, exec_lo
	ds_write_b128 v91, v[28:31]
	ds_write_b128 v91, v[44:47] offset:16
	ds_write_b128 v91, v[52:55] offset:32
	;; [unrolled: 1-line block ×10, first 2 shown]
	v_cmpx_gt_u32_e32 20, v70
	s_cbranch_execz .LBB0_15
; %bb.14:
	v_add_f64 v[66:67], v[12:13], -v[24:25]
	v_add_f64 v[87:88], v[14:15], -v[26:27]
	;; [unrolled: 1-line block ×4, first 2 shown]
	v_add_f64 v[77:78], v[14:15], v[26:27]
	v_add_f64 v[83:84], v[12:13], v[24:25]
	;; [unrolled: 1-line block ×3, first 2 shown]
	v_add_f64 v[64:65], v[4:5], -v[36:37]
	v_add_f64 v[79:80], v[6:7], -v[38:39]
	v_add_f64 v[73:74], v[10:11], v[34:35]
	v_add_f64 v[75:76], v[8:9], v[32:33]
	v_add_f64 v[12:13], v[0:1], v[12:13]
	v_add_f64 v[44:45], v[16:17], -v[48:49]
	v_add_f64 v[56:57], v[20:21], -v[40:41]
	;; [unrolled: 1-line block ×4, first 2 shown]
	v_add_f64 v[58:59], v[6:7], v[38:39]
	v_add_f64 v[60:61], v[4:5], v[36:37]
	;; [unrolled: 1-line block ×6, first 2 shown]
	v_mul_f64 v[92:93], v[66:67], s[14:15]
	v_mul_f64 v[94:95], v[87:88], s[14:15]
	v_mul_f64 v[96:97], v[66:67], s[16:17]
	v_mul_f64 v[98:99], v[87:88], s[16:17]
	v_mul_f64 v[104:105], v[81:82], s[28:29]
	v_mul_f64 v[108:109], v[85:86], s[28:29]
	v_mul_f64 v[122:123], v[81:82], s[30:31]
	v_mul_f64 v[126:127], v[66:67], s[20:21]
	v_mul_f64 v[128:129], v[87:88], s[20:21]
	v_mul_f64 v[134:135], v[85:86], s[30:31]
	v_add_f64 v[10:11], v[14:15], v[10:11]
	v_mul_f64 v[106:107], v[64:65], s[16:17]
	v_mul_f64 v[114:115], v[79:80], s[16:17]
	;; [unrolled: 1-line block ×5, first 2 shown]
	v_add_f64 v[8:9], v[12:13], v[8:9]
	v_mul_f64 v[12:13], v[85:86], s[34:35]
	v_mul_f64 v[100:101], v[44:45], s[20:21]
	;; [unrolled: 1-line block ×5, first 2 shown]
	v_fma_f64 v[130:131], v[77:78], s[26:27], v[92:93]
	v_fma_f64 v[132:133], v[83:84], s[26:27], -v[94:95]
	v_fma_f64 v[92:93], v[77:78], s[26:27], -v[92:93]
	v_fma_f64 v[94:95], v[83:84], s[26:27], v[94:95]
	v_fma_f64 v[14:15], v[77:78], s[6:7], v[96:97]
	v_fma_f64 v[148:149], v[83:84], s[6:7], -v[98:99]
	v_fma_f64 v[96:97], v[77:78], s[6:7], -v[96:97]
	v_fma_f64 v[150:151], v[73:74], s[4:5], v[104:105]
	;; [unrolled: 4-line block ×3, first 2 shown]
	v_fma_f64 v[156:157], v[73:74], s[8:9], v[122:123]
	v_fma_f64 v[158:159], v[77:78], s[8:9], v[126:127]
	v_fma_f64 v[160:161], v[83:84], s[8:9], -v[128:129]
	v_fma_f64 v[162:163], v[75:76], s[8:9], -v[134:135]
	v_add_f64 v[6:7], v[10:11], v[6:7]
	v_mul_f64 v[136:137], v[62:63], s[14:15]
	v_mul_f64 v[144:145], v[64:65], s[36:37]
	;; [unrolled: 1-line block ×3, first 2 shown]
	v_fma_f64 v[122:123], v[73:74], s[8:9], -v[122:123]
	v_fma_f64 v[134:135], v[75:76], s[8:9], v[134:135]
	v_add_f64 v[130:131], v[2:3], v[130:131]
	v_add_f64 v[132:133], v[0:1], v[132:133]
	;; [unrolled: 1-line block ×6, first 2 shown]
	v_fma_f64 v[164:165], v[58:59], s[6:7], v[106:107]
	v_fma_f64 v[166:167], v[60:61], s[6:7], -v[114:115]
	v_fma_f64 v[106:107], v[58:59], s[6:7], -v[106:107]
	v_add_f64 v[4:5], v[8:9], v[4:5]
	v_fma_f64 v[8:9], v[60:61], s[6:7], v[114:115]
	v_fma_f64 v[114:115], v[73:74], s[26:27], v[140:141]
	v_add_f64 v[96:97], v[2:3], v[96:97]
	v_add_f64 v[98:99], v[0:1], v[98:99]
	v_fma_f64 v[148:149], v[60:61], s[4:5], -v[138:139]
	v_add_f64 v[160:161], v[0:1], v[160:161]
	v_mul_f64 v[118:119], v[56:57], s[14:15]
	v_mul_f64 v[142:143], v[56:57], s[24:25]
	;; [unrolled: 1-line block ×3, first 2 shown]
	v_fma_f64 v[126:127], v[77:78], s[8:9], -v[126:127]
	v_fma_f64 v[138:139], v[60:61], s[4:5], v[138:139]
	v_add_f64 v[6:7], v[6:7], v[22:23]
	v_add_f64 v[130:131], v[150:151], v[130:131]
	;; [unrolled: 1-line block ×5, first 2 shown]
	v_fma_f64 v[104:105], v[58:59], s[4:5], v[120:121]
	v_fma_f64 v[108:109], v[75:76], s[26:27], -v[12:13]
	v_add_f64 v[152:153], v[2:3], v[158:159]
	v_add_f64 v[14:15], v[156:157], v[14:15]
	;; [unrolled: 1-line block ×3, first 2 shown]
	v_fma_f64 v[150:151], v[28:29], s[8:9], v[100:101]
	v_fma_f64 v[120:121], v[58:59], s[4:5], -v[120:121]
	v_fma_f64 v[156:157], v[46:47], s[18:19], v[102:103]
	v_fma_f64 v[158:159], v[30:31], s[8:9], -v[110:111]
	v_fma_f64 v[162:163], v[52:53], s[18:19], -v[112:113]
	v_fma_f64 v[112:113], v[52:53], s[18:19], v[112:113]
	v_add_f64 v[96:97], v[122:123], v[96:97]
	v_add_f64 v[98:99], v[134:135], v[98:99]
	v_fma_f64 v[134:135], v[52:53], s[26:27], -v[136:137]
	v_add_f64 v[4:5], v[4:5], v[20:21]
	v_mul_f64 v[116:117], v[44:45], s[36:37]
	v_mul_f64 v[124:125], v[54:55], s[36:37]
	v_fma_f64 v[136:137], v[52:53], s[26:27], v[136:137]
	v_add_f64 v[122:123], v[164:165], v[130:131]
	v_add_f64 v[130:131], v[166:167], v[132:133]
	;; [unrolled: 1-line block ×4, first 2 shown]
	v_fma_f64 v[94:95], v[28:29], s[8:9], -v[100:101]
	v_fma_f64 v[100:101], v[83:84], s[8:9], v[128:129]
	v_fma_f64 v[106:107], v[58:59], s[18:19], v[144:145]
	v_add_f64 v[114:115], v[114:115], v[152:153]
	v_add_f64 v[14:15], v[104:105], v[14:15]
	v_fma_f64 v[104:105], v[30:31], s[8:9], v[110:111]
	v_fma_f64 v[110:111], v[60:61], s[18:19], -v[154:155]
	v_add_f64 v[108:109], v[108:109], v[160:161]
	v_add_f64 v[10:11], v[148:149], v[10:11]
	v_fma_f64 v[128:129], v[46:47], s[26:27], v[118:119]
	v_fma_f64 v[118:119], v[46:47], s[26:27], -v[118:119]
	v_fma_f64 v[140:141], v[73:74], s[26:27], -v[140:141]
	v_add_f64 v[126:127], v[2:3], v[126:127]
	v_add_f64 v[96:97], v[120:121], v[96:97]
	;; [unrolled: 1-line block ×3, first 2 shown]
	v_fma_f64 v[12:13], v[75:76], s[26:27], v[12:13]
	v_mul_f64 v[20:21], v[87:88], s[22:23]
	v_add_f64 v[6:7], v[6:7], v[18:19]
	v_add_f64 v[120:121], v[156:157], v[122:123]
	;; [unrolled: 1-line block ×3, first 2 shown]
	v_fma_f64 v[130:131], v[52:53], s[4:5], -v[146:147]
	v_add_f64 v[8:9], v[112:113], v[8:9]
	v_fma_f64 v[112:113], v[46:47], s[4:5], v[142:143]
	v_add_f64 v[100:101], v[0:1], v[100:101]
	v_add_f64 v[4:5], v[4:5], v[16:17]
	;; [unrolled: 1-line block ×3, first 2 shown]
	v_mul_f64 v[114:115], v[66:67], s[22:23]
	v_mul_f64 v[66:67], v[66:67], s[24:25]
	v_fma_f64 v[132:133], v[28:29], s[18:19], v[116:117]
	v_add_f64 v[108:109], v[110:111], v[108:109]
	v_add_f64 v[134:135], v[134:135], v[10:11]
	v_mul_f64 v[10:11], v[87:88], s[24:25]
	v_fma_f64 v[110:111], v[30:31], s[18:19], -v[124:125]
	v_fma_f64 v[22:23], v[28:29], s[18:19], -v[116:117]
	;; [unrolled: 1-line block ×3, first 2 shown]
	v_add_f64 v[116:117], v[140:141], v[126:127]
	v_add_f64 v[96:97], v[118:119], v[96:97]
	v_fma_f64 v[118:119], v[30:31], s[18:19], v[124:125]
	v_fma_f64 v[124:125], v[60:61], s[18:19], v[154:155]
	v_add_f64 v[98:99], v[136:137], v[98:99]
	v_mul_f64 v[136:137], v[85:86], s[16:17]
	v_mul_f64 v[85:86], v[85:86], s[22:23]
	v_fma_f64 v[18:19], v[83:84], s[18:19], v[20:21]
	v_fma_f64 v[20:21], v[83:84], s[18:19], -v[20:21]
	v_add_f64 v[6:7], v[6:7], v[50:51]
	v_add_f64 v[12:13], v[12:13], v[100:101]
	;; [unrolled: 1-line block ×4, first 2 shown]
	v_mul_f64 v[112:113], v[81:82], s[16:17]
	v_fma_f64 v[126:127], v[77:78], s[18:19], -v[114:115]
	v_mul_f64 v[81:82], v[81:82], s[22:23]
	v_add_f64 v[108:109], v[130:131], v[108:109]
	v_fma_f64 v[130:131], v[77:78], s[4:5], -v[66:67]
	v_fma_f64 v[16:17], v[83:84], s[4:5], v[10:11]
	v_fma_f64 v[114:115], v[77:78], s[18:19], v[114:115]
	;; [unrolled: 1-line block ×3, first 2 shown]
	v_fma_f64 v[10:11], v[83:84], s[4:5], -v[10:11]
	v_add_f64 v[87:88], v[87:88], v[116:117]
	v_fma_f64 v[116:117], v[52:53], s[4:5], v[146:147]
	v_mul_f64 v[77:78], v[64:65], s[34:35]
	v_mul_f64 v[83:84], v[79:80], s[34:35]
	;; [unrolled: 1-line block ×4, first 2 shown]
	v_fma_f64 v[146:147], v[75:76], s[18:19], v[85:86]
	v_fma_f64 v[140:141], v[46:47], s[4:5], -v[142:143]
	v_fma_f64 v[142:143], v[75:76], s[6:7], v[136:137]
	v_add_f64 v[18:19], v[0:1], v[18:19]
	v_add_f64 v[12:13], v[124:125], v[12:13]
	;; [unrolled: 1-line block ×4, first 2 shown]
	v_fma_f64 v[124:125], v[73:74], s[6:7], -v[112:113]
	v_add_f64 v[126:127], v[2:3], v[126:127]
	v_fma_f64 v[144:145], v[73:74], s[18:19], -v[81:82]
	v_fma_f64 v[48:49], v[73:74], s[6:7], v[112:113]
	v_add_f64 v[130:131], v[2:3], v[130:131]
	v_add_f64 v[16:17], v[0:1], v[16:17]
	;; [unrolled: 1-line block ×3, first 2 shown]
	v_fma_f64 v[112:113], v[75:76], s[6:7], -v[136:137]
	v_fma_f64 v[73:74], v[73:74], s[18:19], v[81:82]
	v_add_f64 v[2:3], v[2:3], v[66:67]
	v_fma_f64 v[66:67], v[75:76], s[18:19], -v[85:86]
	v_add_f64 v[0:1], v[0:1], v[10:11]
	v_add_f64 v[4:5], v[4:5], v[40:41]
	v_fma_f64 v[102:103], v[46:47], s[18:19], -v[102:103]
	v_mul_f64 v[10:11], v[56:57], s[30:31]
	v_mul_f64 v[75:76], v[62:63], s[30:31]
	v_fma_f64 v[81:82], v[58:59], s[26:27], -v[77:78]
	v_mul_f64 v[56:57], v[56:57], s[16:17]
	v_mul_f64 v[62:63], v[62:63], s[16:17]
	v_fma_f64 v[114:115], v[60:61], s[26:27], v[83:84]
	v_add_f64 v[18:19], v[142:143], v[18:19]
	v_fma_f64 v[40:41], v[58:59], s[26:27], v[77:78]
	v_add_f64 v[6:7], v[6:7], v[38:39]
	v_add_f64 v[85:86], v[124:125], v[126:127]
	v_fma_f64 v[124:125], v[58:59], s[8:9], -v[64:65]
	v_add_f64 v[14:15], v[128:129], v[14:15]
	v_add_f64 v[126:127], v[144:145], v[130:131]
	v_fma_f64 v[130:131], v[60:61], s[8:9], v[79:80]
	v_add_f64 v[16:17], v[146:147], v[16:17]
	v_add_f64 v[42:43], v[48:49], v[50:51]
	v_fma_f64 v[48:49], v[60:61], s[26:27], -v[83:84]
	v_add_f64 v[20:21], v[112:113], v[20:21]
	v_fma_f64 v[50:51], v[58:59], s[8:9], v[64:65]
	v_add_f64 v[2:3], v[73:74], v[2:3]
	v_fma_f64 v[58:59], v[60:61], s[8:9], -v[79:80]
	v_add_f64 v[0:1], v[66:67], v[0:1]
	v_add_f64 v[4:5], v[4:5], v[36:37]
	;; [unrolled: 1-line block ×3, first 2 shown]
	v_mul_f64 v[102:103], v[44:45], s[16:17]
	v_mul_f64 v[128:129], v[54:55], s[16:17]
	;; [unrolled: 1-line block ×4, first 2 shown]
	v_fma_f64 v[66:67], v[46:47], s[8:9], -v[10:11]
	v_mul_f64 v[44:45], v[44:45], s[14:15]
	v_mul_f64 v[54:55], v[54:55], s[14:15]
	v_add_f64 v[73:74], v[81:82], v[85:86]
	v_fma_f64 v[79:80], v[46:47], s[6:7], -v[56:57]
	v_fma_f64 v[83:84], v[52:53], s[6:7], v[62:63]
	v_add_f64 v[81:82], v[124:125], v[126:127]
	v_fma_f64 v[77:78], v[52:53], s[8:9], v[75:76]
	v_add_f64 v[16:17], v[130:131], v[16:17]
	v_add_f64 v[18:19], v[114:115], v[18:19]
	v_fma_f64 v[10:11], v[46:47], s[8:9], v[10:11]
	v_add_f64 v[36:37], v[40:41], v[42:43]
	v_fma_f64 v[38:39], v[52:53], s[8:9], -v[75:76]
	v_add_f64 v[20:21], v[48:49], v[20:21]
	v_fma_f64 v[40:41], v[46:47], s[6:7], v[56:57]
	v_add_f64 v[2:3], v[50:51], v[2:3]
	v_fma_f64 v[42:43], v[52:53], s[6:7], -v[62:63]
	v_add_f64 v[0:1], v[58:59], v[0:1]
	v_add_f64 v[34:35], v[6:7], v[34:35]
	;; [unrolled: 1-line block ×3, first 2 shown]
	v_fma_f64 v[52:53], v[28:29], s[4:5], -v[60:61]
	v_fma_f64 v[58:59], v[30:31], s[4:5], v[64:65]
	v_fma_f64 v[46:47], v[28:29], s[6:7], -v[102:103]
	v_fma_f64 v[62:63], v[28:29], s[26:27], -v[44:45]
	v_add_f64 v[48:49], v[140:141], v[87:88]
	v_add_f64 v[56:57], v[66:67], v[73:74]
	v_fma_f64 v[73:74], v[30:31], s[26:27], v[54:55]
	v_fma_f64 v[50:51], v[30:31], s[6:7], v[128:129]
	v_add_f64 v[66:67], v[79:80], v[81:82]
	v_add_f64 v[12:13], v[116:117], v[12:13]
	;; [unrolled: 1-line block ×4, first 2 shown]
	v_fma_f64 v[100:101], v[28:29], s[6:7], v[102:103]
	v_fma_f64 v[138:139], v[30:31], s[6:7], -v[128:129]
	v_fma_f64 v[60:61], v[28:29], s[4:5], v[60:61]
	v_add_f64 v[79:80], v[10:11], v[36:37]
	v_fma_f64 v[64:65], v[30:31], s[4:5], -v[64:65]
	v_add_f64 v[38:39], v[38:39], v[20:21]
	v_fma_f64 v[44:45], v[28:29], s[26:27], v[44:45]
	v_add_f64 v[81:82], v[40:41], v[2:3]
	v_fma_f64 v[54:55], v[30:31], s[26:27], -v[54:55]
	v_add_f64 v[42:43], v[42:43], v[0:1]
	v_add_f64 v[32:33], v[34:35], v[26:27]
	;; [unrolled: 1-line block ×23, first 2 shown]
	v_mad_i32_i24 v24, 0xb0, v90, 0
	ds_write_b128 v24, v[30:33]
	ds_write_b128 v24, v[26:29] offset:16
	ds_write_b128 v24, v[20:23] offset:32
	;; [unrolled: 1-line block ×10, first 2 shown]
.LBB0_15:
	s_or_b32 exec_lo, exec_lo, s1
	v_and_b32_e32 v0, 0xff, v70
	v_and_b32_e32 v1, 0xff, v90
	v_add_nc_u32_e32 v73, 0x6e, v70
	v_mov_b32_e32 v20, 6
	s_waitcnt lgkmcnt(0)
	v_mul_lo_u16 v0, 0x75, v0
	v_mul_lo_u16 v1, 0x75, v1
	v_and_b32_e32 v65, 0xff, v73
	s_barrier
	buffer_gl0_inv
	v_lshrrev_b16 v0, 8, v0
	v_lshrrev_b16 v1, 8, v1
	v_mul_lo_u16 v3, 0x75, v65
	v_mad_i32_i24 v66, 0xffffff60, v70, v91
	v_mul_lo_u16 v119, 0x95, v65
	v_sub_nc_u16 v2, v70, v0
	v_sub_nc_u16 v4, v90, v1
	v_lshrrev_b16 v3, 8, v3
	v_lshlrev_b32_e32 v64, 2, v70
	v_mov_b32_e32 v65, 0
	v_lshrrev_b16 v2, 1, v2
	v_lshrrev_b16 v4, 1, v4
	v_sub_nc_u16 v5, v73, v3
	v_mov_b32_e32 v129, 0x370
	v_mov_b32_e32 v80, 4
	v_and_b32_e32 v2, 0x7f, v2
	v_lshrrev_b16 v130, 13, v119
	v_lshlrev_b64 v[127:128], 4, v[64:65]
	v_lshl_add_u32 v67, v90, 4, 0
	s_mov_b32 s14, 0x134454ff
	v_add_nc_u16 v0, v2, v0
	v_and_b32_e32 v2, 0x7f, v4
	v_lshrrev_b16 v4, 1, v5
	v_mul_lo_u16 v64, v130, 55
	s_mov_b32 s15, 0xbfee6f0e
	v_lshrrev_b16 v76, 3, v0
	v_add_nc_u16 v0, v2, v1
	v_and_b32_e32 v1, 0x7f, v4
	s_mov_b32 s17, 0x3fee6f0e
	s_mov_b32 s16, s14
	v_mul_lo_u16 v2, v76, 11
	v_lshrrev_b16 v77, 3, v0
	v_add_nc_u16 v0, v1, v3
	v_mul_u32_u24_sdwa v173, v76, v129 dst_sel:DWORD dst_unused:UNUSED_PAD src0_sel:WORD_0 src1_sel:DWORD
	s_mov_b32 s6, 0x4755a5e
	v_sub_nc_u16 v78, v70, v2
	v_mul_lo_u16 v1, v77, 11
	v_lshrrev_b16 v79, 3, v0
	v_mul_u32_u24_sdwa v174, v77, v129 dst_sel:DWORD dst_unused:UNUSED_PAD src0_sel:WORD_0 src1_sel:DWORD
	s_mov_b32 s7, 0xbfe2cf23
	v_lshlrev_b32_sdwa v0, v20, v78 dst_sel:DWORD dst_unused:UNUSED_PAD src0_sel:DWORD src1_sel:BYTE_0
	v_sub_nc_u16 v75, v90, v1
	v_mul_lo_u16 v1, v79, 11
	v_mul_u32_u24_sdwa v175, v79, v129 dst_sel:DWORD dst_unused:UNUSED_PAD src0_sel:WORD_0 src1_sel:DWORD
	v_lshlrev_b32_sdwa v176, v80, v78 dst_sel:DWORD dst_unused:UNUSED_PAD src0_sel:DWORD src1_sel:BYTE_0
	s_clause 0x1
	global_load_dwordx4 v[16:19], v0, s[12:13]
	global_load_dwordx4 v[8:11], v0, s[12:13] offset:16
	v_lshlrev_b32_sdwa v2, v20, v75 dst_sel:DWORD dst_unused:UNUSED_PAD src0_sel:DWORD src1_sel:BYTE_0
	global_load_dwordx4 v[4:7], v0, s[12:13] offset:32
	v_sub_nc_u16 v74, v73, v1
	s_clause 0x2
	global_load_dwordx4 v[28:31], v0, s[12:13] offset:48
	global_load_dwordx4 v[24:27], v2, s[12:13]
	global_load_dwordx4 v[12:15], v2, s[12:13] offset:16
	v_lshlrev_b32_sdwa v177, v80, v75 dst_sel:DWORD dst_unused:UNUSED_PAD src0_sel:DWORD src1_sel:BYTE_0
	s_mov_b32 s9, 0x3fe2cf23
	v_lshlrev_b32_sdwa v0, v20, v74 dst_sel:DWORD dst_unused:UNUSED_PAD src0_sel:DWORD src1_sel:BYTE_0
	s_clause 0x5
	global_load_dwordx4 v[32:35], v2, s[12:13] offset:32
	global_load_dwordx4 v[20:23], v2, s[12:13] offset:48
	global_load_dwordx4 v[48:51], v0, s[12:13]
	global_load_dwordx4 v[44:47], v0, s[12:13] offset:16
	global_load_dwordx4 v[40:43], v0, s[12:13] offset:32
	;; [unrolled: 1-line block ×3, first 2 shown]
	ds_read_b128 v[0:3], v89
	ds_read_b128 v[56:59], v89 offset:3520
	ds_read_b128 v[60:63], v89 offset:7920
	ds_read_b128 v[52:55], v89 offset:8800
	ds_read_b128 v[81:84], v89 offset:5280
	ds_read_b128 v[85:88], v89 offset:4400
	ds_read_b128 v[91:94], v89 offset:6160
	ds_read_b128 v[95:98], v89 offset:7040
	ds_read_b128 v[99:102], v89 offset:10560
	ds_read_b128 v[103:106], v89 offset:9680
	ds_read_b128 v[107:110], v89 offset:11440
	ds_read_b128 v[111:114], v89 offset:12320
	ds_read_b128 v[115:118], v66 offset:2640
	ds_read_b128 v[119:122], v67
	ds_read_b128 v[123:126], v66 offset:1760
	s_mov_b32 s8, s6
	s_mov_b32 s4, 0x372fe950
	s_mov_b32 s5, 0x3fd3c6ef
	v_add_co_u32 v127, s0, s12, v127
	v_add_co_ci_u32_e64 v128, s0, s13, v128, s0
	v_sub_nc_u16 v64, v73, v64
	s_waitcnt vmcnt(0) lgkmcnt(0)
	s_barrier
	buffer_gl0_inv
	v_mul_f64 v[76:77], v[117:118], v[18:19]
	v_mul_f64 v[18:19], v[115:116], v[18:19]
	;; [unrolled: 1-line block ×24, first 2 shown]
	v_fma_f64 v[76:77], v[115:116], v[16:17], v[76:77]
	v_fma_f64 v[16:17], v[117:118], v[16:17], -v[18:19]
	v_fma_f64 v[18:19], v[81:82], v[8:9], v[78:79]
	v_fma_f64 v[8:9], v[83:84], v[8:9], -v[10:11]
	;; [unrolled: 2-line block ×12, first 2 shown]
	v_add_f64 v[38:39], v[0:1], v[76:77]
	v_add_f64 v[83:84], v[2:3], v[16:17]
	;; [unrolled: 1-line block ×6, first 2 shown]
	v_add_f64 v[52:53], v[16:17], -v[60:61]
	v_add_f64 v[56:57], v[76:77], -v[18:19]
	;; [unrolled: 1-line block ×9, first 2 shown]
	v_add_f64 v[99:100], v[119:120], v[28:29]
	v_add_f64 v[101:102], v[26:27], v[14:15]
	;; [unrolled: 1-line block ×6, first 2 shown]
	v_add_f64 v[103:104], v[24:25], -v[20:21]
	v_add_f64 v[107:108], v[28:29], -v[26:27]
	;; [unrolled: 1-line block ×6, first 2 shown]
	v_add_f64 v[141:142], v[123:124], v[22:23]
	v_add_f64 v[143:144], v[48:49], v[46:47]
	;; [unrolled: 1-line block ×4, first 2 shown]
	v_add_f64 v[113:114], v[26:27], -v[28:29]
	v_add_f64 v[115:116], v[14:15], -v[32:33]
	v_add_f64 v[149:150], v[22:23], v[42:43]
	v_add_f64 v[163:164], v[34:35], v[36:37]
	v_add_f64 v[54:55], v[8:9], -v[4:5]
	v_add_f64 v[75:76], v[76:77], -v[6:7]
	;; [unrolled: 1-line block ×3, first 2 shown]
	v_fma_f64 v[50:51], v[50:51], -0.5, v[0:1]
	v_fma_f64 v[0:1], v[62:63], -0.5, v[0:1]
	;; [unrolled: 1-line block ×3, first 2 shown]
	v_add_f64 v[18:19], v[38:39], v[18:19]
	v_add_f64 v[8:9], v[83:84], v[8:9]
	v_fma_f64 v[2:3], v[95:96], -0.5, v[2:3]
	v_add_f64 v[105:106], v[12:13], -v[30:31]
	v_add_f64 v[28:29], v[28:29], -v[32:33]
	v_add_f64 v[139:140], v[26:27], -v[14:15]
	v_add_f64 v[38:39], v[56:57], v[58:59]
	v_add_f64 v[56:57], v[78:79], v[81:82]
	;; [unrolled: 1-line block ×6, first 2 shown]
	v_fma_f64 v[26:27], v[101:102], -0.5, v[119:120]
	v_fma_f64 v[93:94], v[129:130], -0.5, v[121:122]
	;; [unrolled: 1-line block ×4, first 2 shown]
	v_add_f64 v[145:146], v[22:23], -v[48:49]
	v_add_f64 v[151:152], v[48:49], -v[22:23]
	v_add_f64 v[159:160], v[34:35], -v[44:45]
	v_add_f64 v[165:166], v[44:45], -v[34:35]
	v_add_f64 v[34:35], v[34:35], -v[36:37]
	v_add_f64 v[169:170], v[44:45], -v[40:41]
	v_add_f64 v[22:23], v[22:23], -v[42:43]
	v_add_f64 v[171:172], v[48:49], -v[46:47]
	v_add_f64 v[81:82], v[107:108], v[109:110]
	v_add_f64 v[97:98], v[24:25], v[137:138]
	v_add_f64 v[24:25], v[141:142], v[48:49]
	v_fma_f64 v[48:49], v[143:144], -0.5, v[123:124]
	v_add_f64 v[44:45], v[155:156], v[44:45]
	v_fma_f64 v[109:110], v[157:158], -0.5, v[125:126]
	v_add_f64 v[133:134], v[20:21], -v[30:31]
	v_add_f64 v[83:84], v[113:114], v[115:116]
	v_fma_f64 v[101:102], v[149:150], -0.5, v[123:124]
	v_fma_f64 v[113:114], v[163:164], -0.5, v[125:126]
	v_add_f64 v[10:11], v[18:19], v[10:11]
	v_fma_f64 v[18:19], v[52:53], s[14:15], v[50:51]
	v_add_f64 v[4:5], v[8:9], v[4:5]
	v_fma_f64 v[8:9], v[75:76], s[16:17], v[62:63]
	v_fma_f64 v[50:51], v[52:53], s[16:17], v[50:51]
	;; [unrolled: 1-line block ×7, first 2 shown]
	v_add_f64 v[14:15], v[16:17], v[14:15]
	v_fma_f64 v[16:17], v[103:104], s[14:15], v[26:27]
	v_add_f64 v[12:13], v[12:13], v[30:31]
	v_fma_f64 v[30:31], v[28:29], s[16:17], v[93:94]
	v_fma_f64 v[125:126], v[105:106], s[16:17], v[91:92]
	;; [unrolled: 1-line block ×7, first 2 shown]
	v_add_f64 v[147:148], v[42:43], -v[46:47]
	v_add_f64 v[153:154], v[46:47], -v[42:43]
	;; [unrolled: 1-line block ×4, first 2 shown]
	v_add_f64 v[24:25], v[24:25], v[46:47]
	v_fma_f64 v[46:47], v[34:35], s[14:15], v[48:49]
	v_add_f64 v[40:41], v[44:45], v[40:41]
	v_fma_f64 v[44:45], v[22:23], s[16:17], v[109:110]
	;; [unrolled: 2-line block ×3, first 2 shown]
	v_fma_f64 v[133:134], v[171:172], s[14:15], v[113:114]
	v_fma_f64 v[101:102], v[169:170], s[14:15], v[101:102]
	;; [unrolled: 1-line block ×6, first 2 shown]
	v_add_f64 v[2:3], v[4:5], v[60:61]
	v_fma_f64 v[60:61], v[87:88], s[8:9], v[8:9]
	v_fma_f64 v[50:51], v[54:55], s[8:9], v[50:51]
	;; [unrolled: 1-line block ×7, first 2 shown]
	v_add_f64 v[4:5], v[14:15], v[32:33]
	v_fma_f64 v[32:33], v[105:106], s[6:7], v[16:17]
	v_fma_f64 v[30:31], v[139:140], s[8:9], v[30:31]
	;; [unrolled: 1-line block ×8, first 2 shown]
	v_add_f64 v[99:100], v[145:146], v[147:148]
	v_add_f64 v[111:112], v[159:160], v[161:162]
	v_fma_f64 v[46:47], v[169:170], s[6:7], v[46:47]
	v_fma_f64 v[121:122], v[171:172], s[8:9], v[44:45]
	v_add_f64 v[107:108], v[151:152], v[153:154]
	v_add_f64 v[115:116], v[165:166], v[167:168]
	v_fma_f64 v[119:120], v[34:35], s[6:7], v[131:132]
	v_fma_f64 v[123:124], v[22:23], s[8:9], v[133:134]
	;; [unrolled: 1-line block ×6, first 2 shown]
	v_add_f64 v[0:1], v[10:11], v[6:7]
	v_add_f64 v[6:7], v[12:13], v[20:21]
	v_fma_f64 v[12:13], v[38:39], s[4:5], v[18:19]
	v_fma_f64 v[14:15], v[58:59], s[4:5], v[60:61]
	;; [unrolled: 1-line block ×4, first 2 shown]
	v_add_f64 v[8:9], v[24:25], v[42:43]
	v_fma_f64 v[24:25], v[56:57], s[4:5], v[52:53]
	v_fma_f64 v[26:27], v[77:78], s[4:5], v[75:76]
	;; [unrolled: 1-line block ×6, first 2 shown]
	v_add_f64 v[10:11], v[40:41], v[36:37]
	v_fma_f64 v[36:37], v[83:84], s[4:5], v[117:118]
	v_fma_f64 v[38:39], v[97:98], s[4:5], v[103:104]
	;; [unrolled: 1-line block ×14, first 2 shown]
	v_add3_u32 v60, 0, v173, v176
	v_lshlrev_b32_sdwa v61, v80, v74 dst_sel:DWORD dst_unused:UNUSED_PAD src0_sel:DWORD src1_sel:BYTE_0
	v_add3_u32 v62, 0, v174, v177
	v_add3_u32 v61, 0, v175, v61
	ds_write_b128 v60, v[0:3]
	ds_write_b128 v60, v[12:15] offset:176
	ds_write_b128 v60, v[20:23] offset:352
	ds_write_b128 v60, v[24:27] offset:528
	ds_write_b128 v60, v[16:19] offset:704
	ds_write_b128 v62, v[4:7]
	ds_write_b128 v62, v[28:31] offset:176
	ds_write_b128 v62, v[36:39] offset:352
	ds_write_b128 v62, v[40:43] offset:528
	ds_write_b128 v62, v[32:35] offset:704
	;; [unrolled: 5-line block ×3, first 2 shown]
	s_waitcnt lgkmcnt(0)
	s_barrier
	buffer_gl0_inv
	s_clause 0x2
	global_load_dwordx4 v[12:15], v[127:128], off offset:704
	global_load_dwordx4 v[8:11], v[127:128], off offset:720
	;; [unrolled: 1-line block ×3, first 2 shown]
	v_and_b32_e32 v44, 0xff, v64
	global_load_dwordx4 v[4:7], v[127:128], off offset:752
	v_lshlrev_b32_e32 v64, 1, v70
	v_lshlrev_b32_e32 v32, 1, v90
	v_mov_b32_e32 v33, v65
	v_lshlrev_b32_e32 v16, 6, v44
	s_clause 0x3
	global_load_dwordx4 v[28:31], v16, s[12:13] offset:704
	global_load_dwordx4 v[24:27], v16, s[12:13] offset:720
	;; [unrolled: 1-line block ×4, first 2 shown]
	v_lshlrev_b64 v[38:39], 4, v[64:65]
	v_lshlrev_b32_e32 v34, 1, v73
	v_mov_b32_e32 v35, v65
	v_mov_b32_e32 v37, v65
	v_add_nc_u32_e32 v36, 0x14a, v64
	v_lshlrev_b64 v[32:33], 4, v[32:33]
	v_add_nc_u32_e32 v64, 0x1b8, v64
	v_lshlrev_b64 v[34:35], 4, v[34:35]
	ds_read_b128 v[49:52], v66 offset:2640
	ds_read_b128 v[53:56], v89 offset:5280
	v_lshlrev_b64 v[45:46], 4, v[36:37]
	v_add_co_u32 v36, s0, s12, v38
	v_add_co_ci_u32_e64 v37, s0, s13, v39, s0
	v_add_co_u32 v38, s0, s12, v32
	v_add_co_ci_u32_e64 v39, s0, s13, v33, s0
	;; [unrolled: 2-line block ×8, first 2 shown]
	v_lshlrev_b64 v[81:82], 4, v[64:65]
	v_add_co_u32 v38, s0, 0x1000, v47
	ds_read_b128 v[57:60], v89 offset:7920
	ds_read_b128 v[61:64], v89 offset:10560
	;; [unrolled: 1-line block ×4, first 2 shown]
	v_add_co_ci_u32_e64 v39, s0, 0, v48, s0
	v_add_co_u32 v47, s0, s12, v45
	v_add_co_ci_u32_e64 v48, s0, s13, v46, s0
	v_add_co_u32 v45, s0, s12, v81
	v_add_co_ci_u32_e64 v46, s0, s13, v82, s0
	ds_read_b128 v[81:84], v89 offset:8800
	ds_read_b128 v[85:88], v89 offset:11440
	;; [unrolled: 1-line block ×6, first 2 shown]
	ds_read_b128 v[106:109], v89
	ds_read_b128 v[110:113], v66 offset:1760
	v_lshl_add_u32 v44, v44, 4, 0
	s_waitcnt vmcnt(7) lgkmcnt(13)
	v_mul_f64 v[114:115], v[51:52], v[14:15]
	v_mul_f64 v[116:117], v[49:50], v[14:15]
	s_waitcnt vmcnt(6) lgkmcnt(12)
	v_mul_f64 v[118:119], v[55:56], v[10:11]
	v_mul_f64 v[120:121], v[53:54], v[10:11]
	;; [unrolled: 3-line block ×4, first 2 shown]
	s_waitcnt lgkmcnt(9)
	v_mul_f64 v[130:131], v[75:76], v[14:15]
	v_mul_f64 v[14:15], v[73:74], v[14:15]
	s_waitcnt lgkmcnt(8)
	v_mul_f64 v[132:133], v[79:80], v[10:11]
	v_mul_f64 v[10:11], v[77:78], v[10:11]
	;; [unrolled: 3-line block ×4, first 2 shown]
	s_waitcnt vmcnt(3) lgkmcnt(5)
	v_mul_f64 v[138:139], v[92:93], v[30:31]
	v_mul_f64 v[30:31], v[90:91], v[30:31]
	s_waitcnt vmcnt(2) lgkmcnt(4)
	v_mul_f64 v[140:141], v[96:97], v[26:27]
	v_mul_f64 v[26:27], v[94:95], v[26:27]
	;; [unrolled: 3-line block ×4, first 2 shown]
	v_fma_f64 v[114:115], v[49:50], v[12:13], v[114:115]
	v_fma_f64 v[116:117], v[51:52], v[12:13], -v[116:117]
	v_fma_f64 v[53:54], v[53:54], v[8:9], v[118:119]
	v_fma_f64 v[55:56], v[55:56], v[8:9], -v[120:121]
	;; [unrolled: 2-line block ×3, first 2 shown]
	v_fma_f64 v[63:64], v[63:64], v[4:5], -v[128:129]
	v_fma_f64 v[61:62], v[61:62], v[4:5], v[126:127]
	v_fma_f64 v[73:74], v[73:74], v[12:13], v[130:131]
	v_fma_f64 v[12:13], v[75:76], v[12:13], -v[14:15]
	v_fma_f64 v[14:15], v[77:78], v[8:9], v[132:133]
	v_fma_f64 v[8:9], v[79:80], v[8:9], -v[10:11]
	;; [unrolled: 2-line block ×4, first 2 shown]
	ds_read_b128 v[49:52], v67
	v_fma_f64 v[2:3], v[90:91], v[28:29], v[138:139]
	v_fma_f64 v[4:5], v[92:93], v[28:29], -v[30:31]
	v_fma_f64 v[28:29], v[94:95], v[24:25], v[140:141]
	v_fma_f64 v[24:25], v[96:97], v[24:25], -v[26:27]
	;; [unrolled: 2-line block ×4, first 2 shown]
	s_waitcnt lgkmcnt(2)
	v_add_f64 v[18:19], v[106:107], v[114:115]
	v_add_f64 v[30:31], v[53:54], v[57:58]
	;; [unrolled: 1-line block ×6, first 2 shown]
	v_add_f64 v[77:78], v[116:117], -v[63:64]
	v_add_f64 v[98:99], v[116:117], -v[55:56]
	;; [unrolled: 1-line block ×3, first 2 shown]
	v_add_f64 v[116:117], v[14:15], v[10:11]
	v_add_f64 v[120:121], v[8:9], v[0:1]
	s_waitcnt lgkmcnt(0)
	v_add_f64 v[124:125], v[49:50], v[73:74]
	v_add_f64 v[118:119], v[73:74], v[75:76]
	v_add_f64 v[122:123], v[12:13], v[6:7]
	v_add_f64 v[81:82], v[114:115], -v[53:54]
	v_add_f64 v[83:84], v[61:62], -v[57:58]
	;; [unrolled: 1-line block ×6, first 2 shown]
	v_add_f64 v[144:145], v[110:111], v[2:3]
	v_add_f64 v[146:147], v[28:29], v[26:27]
	;; [unrolled: 1-line block ×7, first 2 shown]
	v_add_f64 v[79:80], v[55:56], -v[59:60]
	v_add_f64 v[148:149], v[2:3], -v[28:29]
	;; [unrolled: 1-line block ×4, first 2 shown]
	v_fma_f64 v[2:3], v[30:31], -0.5, v[106:107]
	v_fma_f64 v[30:31], v[94:95], -0.5, v[108:109]
	v_add_f64 v[18:19], v[18:19], v[53:54]
	v_add_f64 v[55:56], v[92:93], v[55:56]
	v_add_f64 v[162:163], v[4:5], -v[24:25]
	v_add_f64 v[168:169], v[24:25], -v[4:5]
	;; [unrolled: 1-line block ×4, first 2 shown]
	v_fma_f64 v[4:5], v[85:86], -0.5, v[106:107]
	v_fma_f64 v[85:86], v[102:103], -0.5, v[108:109]
	v_add_f64 v[126:127], v[73:74], -v[14:15]
	v_add_f64 v[128:129], v[75:76], -v[10:11]
	;; [unrolled: 1-line block ×8, first 2 shown]
	v_fma_f64 v[94:95], v[116:117], -0.5, v[49:50]
	v_fma_f64 v[102:103], v[120:121], -0.5, v[51:52]
	v_add_f64 v[14:15], v[124:125], v[14:15]
	v_add_f64 v[174:175], v[8:9], -v[0:1]
	v_fma_f64 v[49:50], v[118:119], -0.5, v[49:50]
	v_fma_f64 v[51:52], v[122:123], -0.5, v[51:52]
	v_add_f64 v[180:181], v[24:25], -v[20:21]
	v_add_f64 v[184:185], v[28:29], -v[26:27]
	v_add_f64 v[53:54], v[81:82], v[83:84]
	v_add_f64 v[81:82], v[87:88], v[90:91]
	;; [unrolled: 1-line block ×4, first 2 shown]
	v_fma_f64 v[104:105], v[146:147], -0.5, v[110:111]
	v_add_f64 v[24:25], v[158:159], v[24:25]
	v_fma_f64 v[114:115], v[160:161], -0.5, v[112:113]
	v_add_f64 v[132:133], v[10:11], -v[75:76]
	v_fma_f64 v[108:109], v[152:153], -0.5, v[110:111]
	v_fma_f64 v[112:113], v[166:167], -0.5, v[112:113]
	v_add_f64 v[8:9], v[134:135], v[8:9]
	v_add_f64 v[100:101], v[63:64], -v[59:60]
	v_add_f64 v[18:19], v[18:19], v[57:58]
	v_fma_f64 v[57:58], v[77:78], s[14:15], v[2:3]
	v_fma_f64 v[2:3], v[77:78], s[16:17], v[2:3]
	v_add_f64 v[55:56], v[55:56], v[59:60]
	v_fma_f64 v[59:60], v[96:97], s[16:17], v[30:31]
	v_fma_f64 v[120:121], v[79:80], s[16:17], v[4:5]
	;; [unrolled: 1-line block ×6, first 2 shown]
	v_add_f64 v[138:139], v[6:7], -v[0:1]
	v_add_f64 v[90:91], v[126:127], v[128:129]
	v_add_f64 v[10:11], v[14:15], v[10:11]
	v_fma_f64 v[14:15], v[12:13], s[14:15], v[94:95]
	v_fma_f64 v[126:127], v[73:74], s[16:17], v[102:103]
	v_add_f64 v[142:143], v[0:1], -v[6:7]
	v_fma_f64 v[124:125], v[174:175], s[16:17], v[49:50]
	v_fma_f64 v[128:129], v[176:177], s[14:15], v[51:52]
	;; [unrolled: 1-line block ×6, first 2 shown]
	v_add_f64 v[150:151], v[22:23], -v[26:27]
	v_add_f64 v[156:157], v[26:27], -v[22:23]
	;; [unrolled: 1-line block ×4, first 2 shown]
	v_add_f64 v[26:27], v[28:29], v[26:27]
	v_fma_f64 v[28:29], v[178:179], s[14:15], v[104:105]
	v_add_f64 v[20:21], v[24:25], v[20:21]
	v_fma_f64 v[24:25], v[182:183], s[16:17], v[114:115]
	;; [unrolled: 2-line block ×3, first 2 shown]
	v_fma_f64 v[132:133], v[184:185], s[14:15], v[112:113]
	v_fma_f64 v[108:109], v[180:181], s[14:15], v[108:109]
	;; [unrolled: 1-line block ×5, first 2 shown]
	v_add_f64 v[8:9], v[8:9], v[0:1]
	v_add_f64 v[83:84], v[98:99], v[100:101]
	;; [unrolled: 1-line block ×3, first 2 shown]
	v_fma_f64 v[18:19], v[79:80], s[6:7], v[57:58]
	v_fma_f64 v[57:58], v[79:80], s[8:9], v[2:3]
	v_add_f64 v[2:3], v[55:56], v[63:64]
	v_fma_f64 v[55:56], v[172:173], s[8:9], v[59:60]
	v_fma_f64 v[61:62], v[77:78], s[6:7], v[120:121]
	;; [unrolled: 1-line block ×6, first 2 shown]
	v_add_f64 v[98:99], v[136:137], v[138:139]
	v_add_f64 v[4:5], v[10:11], v[75:76]
	v_fma_f64 v[75:76], v[174:175], s[6:7], v[14:15]
	v_fma_f64 v[96:97], v[176:177], s[8:9], v[126:127]
	v_add_f64 v[100:101], v[140:141], v[142:143]
	v_fma_f64 v[85:86], v[12:13], s[6:7], v[124:125]
	v_fma_f64 v[120:121], v[73:74], s[8:9], v[128:129]
	;; [unrolled: 1-line block ×6, first 2 shown]
	v_add_f64 v[106:107], v[148:149], v[150:151]
	v_add_f64 v[116:117], v[162:163], v[164:165]
	v_fma_f64 v[122:123], v[180:181], s[6:7], v[28:29]
	v_fma_f64 v[126:127], v[184:185], s[8:9], v[24:25]
	v_add_f64 v[110:111], v[154:155], v[156:157]
	v_add_f64 v[118:119], v[168:169], v[170:171]
	v_fma_f64 v[124:125], v[178:179], s[6:7], v[130:131]
	v_fma_f64 v[128:129], v[182:183], s[8:9], v[132:133]
	;; [unrolled: 1-line block ×6, first 2 shown]
	v_add_f64 v[6:7], v[8:9], v[6:7]
	v_fma_f64 v[12:13], v[53:54], s[4:5], v[18:19]
	v_fma_f64 v[14:15], v[83:84], s[4:5], v[55:56]
	v_add_f64 v[8:9], v[26:27], v[22:23]
	v_add_f64 v[10:11], v[20:21], v[16:17]
	v_fma_f64 v[20:21], v[81:82], s[4:5], v[61:62]
	v_fma_f64 v[22:23], v[87:88], s[4:5], v[59:60]
	;; [unrolled: 1-line block ×22, first 2 shown]
	v_add_co_u32 v85, s0, 0x1080, v47
	v_add_co_ci_u32_e64 v86, s0, 0, v48, s0
	s_barrier
	buffer_gl0_inv
	ds_write_b128 v89, v[0:3]
	ds_write_b128 v89, v[4:7] offset:4400
	ds_write_b128 v89, v[12:15] offset:880
	;; [unrolled: 1-line block ×14, first 2 shown]
	s_waitcnt lgkmcnt(0)
	s_barrier
	buffer_gl0_inv
	global_load_dwordx4 v[0:3], v[42:43], off offset:128
	v_add_co_u32 v24, s0, 0x1000, v47
	s_clause 0x1
	global_load_dwordx4 v[4:7], v[32:33], off offset:16
	global_load_dwordx4 v[8:11], v[40:41], off offset:128
	v_add_co_ci_u32_e64 v25, s0, 0, v48, s0
	v_add_co_u32 v32, s0, 0x1000, v45
	v_add_co_ci_u32_e64 v33, s0, 0, v46, s0
	s_clause 0x3
	global_load_dwordx4 v[12:15], v[34:35], off offset:16
	global_load_dwordx4 v[16:19], v[38:39], off offset:128
	;; [unrolled: 1-line block ×4, first 2 shown]
	v_add_co_u32 v36, s0, 0x1080, v45
	v_add_co_ci_u32_e64 v37, s0, 0, v46, s0
	s_clause 0x2
	global_load_dwordx4 v[28:31], v[85:86], off offset:16
	global_load_dwordx4 v[32:35], v[32:33], off offset:128
	global_load_dwordx4 v[36:39], v[36:37], off offset:16
	ds_read_b128 v[40:43], v89 offset:4400
	ds_read_b128 v[44:47], v89 offset:8800
	;; [unrolled: 1-line block ×10, first 2 shown]
	ds_read_b128 v[90:93], v89
	ds_read_b128 v[94:97], v67
	s_mov_b32 s0, 0xe8584caa
	s_mov_b32 s1, 0xbfebb67a
	;; [unrolled: 1-line block ×4, first 2 shown]
	s_waitcnt vmcnt(9) lgkmcnt(11)
	v_mul_f64 v[98:99], v[42:43], v[2:3]
	v_mul_f64 v[2:3], v[40:41], v[2:3]
	s_waitcnt vmcnt(8) lgkmcnt(10)
	v_mul_f64 v[100:101], v[46:47], v[6:7]
	v_mul_f64 v[6:7], v[44:45], v[6:7]
	;; [unrolled: 3-line block ×10, first 2 shown]
	v_fma_f64 v[40:41], v[40:41], v[0:1], v[98:99]
	v_fma_f64 v[42:43], v[42:43], v[0:1], -v[2:3]
	v_fma_f64 v[44:45], v[44:45], v[4:5], v[100:101]
	v_fma_f64 v[46:47], v[46:47], v[4:5], -v[6:7]
	;; [unrolled: 2-line block ×3, first 2 shown]
	ds_read_b128 v[0:3], v66 offset:1760
	ds_read_b128 v[4:7], v66 offset:2640
	v_fma_f64 v[52:53], v[52:53], v[12:13], v[104:105]
	v_fma_f64 v[54:55], v[54:55], v[12:13], -v[14:15]
	v_fma_f64 v[12:13], v[56:57], v[16:17], v[106:107]
	v_fma_f64 v[14:15], v[58:59], v[16:17], -v[18:19]
	v_fma_f64 v[16:17], v[60:61], v[20:21], v[108:109]
	v_fma_f64 v[18:19], v[62:63], v[20:21], -v[22:23]
	v_fma_f64 v[20:21], v[73:74], v[24:25], v[110:111]
	v_fma_f64 v[22:23], v[75:76], v[24:25], -v[26:27]
	v_fma_f64 v[24:25], v[77:78], v[28:29], v[112:113]
	v_fma_f64 v[26:27], v[79:80], v[28:29], -v[30:31]
	v_fma_f64 v[28:29], v[81:82], v[32:33], v[114:115]
	v_fma_f64 v[30:31], v[83:84], v[32:33], -v[34:35]
	v_fma_f64 v[32:33], v[85:86], v[36:37], v[116:117]
	v_fma_f64 v[34:35], v[87:88], v[36:37], -v[38:39]
	ds_read_b128 v[8:11], v89 offset:3520
	s_waitcnt lgkmcnt(4)
	v_add_f64 v[36:37], v[90:91], v[40:41]
	v_add_f64 v[58:59], v[92:93], v[42:43]
	;; [unrolled: 1-line block ×3, first 2 shown]
	v_add_f64 v[56:57], v[42:43], -v[46:47]
	v_add_f64 v[42:43], v[42:43], v[46:47]
	s_waitcnt lgkmcnt(3)
	v_add_f64 v[75:76], v[96:97], v[50:51]
	v_add_f64 v[60:61], v[94:95], v[48:49]
	;; [unrolled: 1-line block ×3, first 2 shown]
	v_add_f64 v[73:74], v[50:51], -v[54:55]
	v_add_f64 v[50:51], v[50:51], v[54:55]
	v_add_f64 v[40:41], v[40:41], -v[44:45]
	v_add_f64 v[79:80], v[12:13], v[16:17]
	v_add_f64 v[85:86], v[14:15], v[18:19]
	s_waitcnt lgkmcnt(2)
	v_add_f64 v[77:78], v[0:1], v[12:13]
	s_waitcnt lgkmcnt(1)
	v_add_f64 v[100:101], v[4:5], v[20:21]
	v_add_f64 v[98:99], v[20:21], v[24:25]
	;; [unrolled: 1-line block ×3, first 2 shown]
	v_add_f64 v[104:105], v[22:23], -v[26:27]
	v_add_f64 v[22:23], v[6:7], v[22:23]
	v_add_f64 v[106:107], v[28:29], v[32:33]
	;; [unrolled: 1-line block ×3, first 2 shown]
	v_add_f64 v[110:111], v[20:21], -v[24:25]
	s_waitcnt lgkmcnt(0)
	v_add_f64 v[20:21], v[8:9], v[28:29]
	v_add_f64 v[112:113], v[10:11], v[30:31]
	v_fma_f64 v[38:39], v[38:39], -0.5, v[90:91]
	v_add_f64 v[90:91], v[30:31], -v[34:35]
	v_fma_f64 v[30:31], v[42:43], -0.5, v[92:93]
	v_add_f64 v[48:49], v[48:49], -v[52:53]
	v_add_f64 v[87:88], v[12:13], -v[16:17]
	v_fma_f64 v[42:43], v[62:63], -0.5, v[94:95]
	v_add_f64 v[12:13], v[36:37], v[44:45]
	v_fma_f64 v[36:37], v[50:51], -0.5, v[96:97]
	v_add_f64 v[83:84], v[2:3], v[14:15]
	v_add_f64 v[81:82], v[14:15], -v[18:19]
	v_add_f64 v[14:15], v[58:59], v[46:47]
	v_fma_f64 v[44:45], v[79:80], -0.5, v[0:1]
	v_fma_f64 v[46:47], v[85:86], -0.5, v[2:3]
	v_add_f64 v[0:1], v[60:61], v[52:53]
	v_fma_f64 v[50:51], v[98:99], -0.5, v[4:5]
	v_fma_f64 v[52:53], v[102:103], -0.5, v[6:7]
	v_add_f64 v[92:93], v[28:29], -v[32:33]
	v_add_f64 v[2:3], v[75:76], v[54:55]
	v_fma_f64 v[54:55], v[106:107], -0.5, v[8:9]
	v_fma_f64 v[58:59], v[108:109], -0.5, v[10:11]
	v_add_f64 v[4:5], v[77:78], v[16:17]
	v_add_f64 v[10:11], v[22:23], v[26:27]
	;; [unrolled: 1-line block ×3, first 2 shown]
	v_fma_f64 v[20:21], v[56:57], s[0:1], v[38:39]
	v_fma_f64 v[22:23], v[40:41], s[4:5], v[30:31]
	v_add_f64 v[8:9], v[100:101], v[24:25]
	v_fma_f64 v[24:25], v[56:57], s[4:5], v[38:39]
	v_fma_f64 v[26:27], v[40:41], s[0:1], v[30:31]
	;; [unrolled: 1-line block ×4, first 2 shown]
	v_add_f64 v[6:7], v[83:84], v[18:19]
	v_add_f64 v[18:19], v[112:113], v[34:35]
	v_fma_f64 v[32:33], v[73:74], s[4:5], v[42:43]
	v_fma_f64 v[34:35], v[48:49], s[0:1], v[36:37]
	;; [unrolled: 1-line block ×14, first 2 shown]
	s_barrier
	buffer_gl0_inv
	ds_write_b128 v89, v[12:15]
	ds_write_b128 v89, v[20:23] offset:4400
	ds_write_b128 v89, v[24:27] offset:8800
	ds_write_b128 v67, v[0:3]
	ds_write_b128 v67, v[28:31] offset:4400
	ds_write_b128 v67, v[32:35] offset:8800
	;; [unrolled: 1-line block ×11, first 2 shown]
	s_waitcnt lgkmcnt(0)
	s_barrier
	buffer_gl0_inv
	s_and_saveexec_b32 s0, vcc_lo
	s_cbranch_execz .LBB0_17
; %bb.16:
	v_mul_lo_u32 v2, s3, v71
	v_mul_lo_u32 v3, s2, v72
	v_mad_u64_u32 v[0:1], null, s2, v71, 0
	v_lshl_add_u32 v26, v70, 4, 0
	v_mov_b32_e32 v71, v65
	v_lshlrev_b64 v[8:9], 4, v[68:69]
	v_add_nc_u32_e32 v64, 55, v70
	v_add3_u32 v1, v1, v3, v2
	v_lshlrev_b64 v[12:13], 4, v[70:71]
	v_lshlrev_b64 v[10:11], 4, v[0:1]
	ds_read_b128 v[0:3], v26
	ds_read_b128 v[4:7], v26 offset:880
	v_add_co_u32 v14, vcc_lo, s10, v10
	v_add_co_ci_u32_e32 v15, vcc_lo, s11, v11, vcc_lo
	v_lshlrev_b64 v[10:11], 4, v[64:65]
	v_add_co_u32 v30, vcc_lo, v14, v8
	v_add_co_ci_u32_e32 v31, vcc_lo, v15, v9, vcc_lo
	v_add_nc_u32_e32 v64, 0x6e, v70
	v_add_co_u32 v8, vcc_lo, v30, v12
	v_add_co_ci_u32_e32 v9, vcc_lo, v31, v13, vcc_lo
	v_lshlrev_b64 v[12:13], 4, v[64:65]
	v_add_co_u32 v10, vcc_lo, v30, v10
	v_add_co_ci_u32_e32 v11, vcc_lo, v31, v11, vcc_lo
	v_add_nc_u32_e32 v64, 0xa5, v70
	v_add_co_u32 v18, vcc_lo, v30, v12
	s_waitcnt lgkmcnt(1)
	global_store_dwordx4 v[8:9], v[0:3], off
	s_waitcnt lgkmcnt(0)
	global_store_dwordx4 v[10:11], v[4:7], off
	v_add_co_ci_u32_e32 v19, vcc_lo, v31, v13, vcc_lo
	v_lshlrev_b64 v[16:17], 4, v[64:65]
	v_add_nc_u32_e32 v64, 0xdc, v70
	ds_read_b128 v[0:3], v26 offset:1760
	ds_read_b128 v[4:7], v26 offset:2640
	;; [unrolled: 1-line block ×4, first 2 shown]
	v_lshlrev_b64 v[20:21], 4, v[64:65]
	v_add_nc_u32_e32 v64, 0x113, v70
	v_add_co_u32 v16, vcc_lo, v30, v16
	v_add_co_ci_u32_e32 v17, vcc_lo, v31, v17, vcc_lo
	v_lshlrev_b64 v[22:23], 4, v[64:65]
	v_add_nc_u32_e32 v64, 0x14a, v70
	v_add_co_u32 v20, vcc_lo, v30, v20
	v_add_co_ci_u32_e32 v21, vcc_lo, v31, v21, vcc_lo
	v_add_co_u32 v22, vcc_lo, v30, v22
	v_lshlrev_b64 v[24:25], 4, v[64:65]
	v_add_nc_u32_e32 v64, 0x181, v70
	v_add_co_ci_u32_e32 v23, vcc_lo, v31, v23, vcc_lo
	s_waitcnt lgkmcnt(3)
	global_store_dwordx4 v[18:19], v[0:3], off
	s_waitcnt lgkmcnt(2)
	global_store_dwordx4 v[16:17], v[4:7], off
	;; [unrolled: 2-line block ×4, first 2 shown]
	ds_read_b128 v[0:3], v26 offset:5280
	ds_read_b128 v[4:7], v26 offset:6160
	v_lshlrev_b64 v[16:17], 4, v[64:65]
	v_add_nc_u32_e32 v64, 0x1b8, v70
	ds_read_b128 v[8:11], v26 offset:7040
	ds_read_b128 v[12:15], v26 offset:7920
	v_add_co_u32 v18, vcc_lo, v30, v24
	v_add_co_ci_u32_e32 v19, vcc_lo, v31, v25, vcc_lo
	v_lshlrev_b64 v[20:21], 4, v[64:65]
	v_add_nc_u32_e32 v64, 0x1ef, v70
	v_add_co_u32 v16, vcc_lo, v30, v16
	v_add_co_ci_u32_e32 v17, vcc_lo, v31, v17, vcc_lo
	v_lshlrev_b64 v[22:23], 4, v[64:65]
	v_add_nc_u32_e32 v64, 0x226, v70
	;; [unrolled: 4-line block ×3, first 2 shown]
	v_add_co_u32 v22, vcc_lo, v30, v22
	v_add_co_ci_u32_e32 v23, vcc_lo, v31, v23, vcc_lo
	s_waitcnt lgkmcnt(3)
	global_store_dwordx4 v[18:19], v[0:3], off
	s_waitcnt lgkmcnt(2)
	global_store_dwordx4 v[16:17], v[4:7], off
	;; [unrolled: 2-line block ×4, first 2 shown]
	v_lshlrev_b64 v[8:9], 4, v[64:65]
	v_add_co_u32 v20, vcc_lo, v30, v24
	v_add_nc_u32_e32 v64, 0x294, v70
	v_add_co_ci_u32_e32 v21, vcc_lo, v31, v25, vcc_lo
	v_add_co_u32 v24, vcc_lo, v30, v8
	ds_read_b128 v[0:3], v26 offset:8800
	ds_read_b128 v[4:7], v26 offset:9680
	v_add_co_ci_u32_e32 v25, vcc_lo, v31, v9, vcc_lo
	ds_read_b128 v[8:11], v26 offset:10560
	ds_read_b128 v[12:15], v26 offset:11440
	;; [unrolled: 1-line block ×3, first 2 shown]
	v_lshlrev_b64 v[22:23], 4, v[64:65]
	v_add_nc_u32_e32 v64, 0x2cb, v70
	v_lshlrev_b64 v[26:27], 4, v[64:65]
	v_add_nc_u32_e32 v64, 0x302, v70
	v_add_co_u32 v22, vcc_lo, v30, v22
	v_add_co_ci_u32_e32 v23, vcc_lo, v31, v23, vcc_lo
	v_lshlrev_b64 v[28:29], 4, v[64:65]
	v_add_co_u32 v26, vcc_lo, v30, v26
	v_add_co_ci_u32_e32 v27, vcc_lo, v31, v27, vcc_lo
	v_add_co_u32 v28, vcc_lo, v30, v28
	v_add_co_ci_u32_e32 v29, vcc_lo, v31, v29, vcc_lo
	s_waitcnt lgkmcnt(4)
	global_store_dwordx4 v[20:21], v[0:3], off
	s_waitcnt lgkmcnt(3)
	global_store_dwordx4 v[24:25], v[4:7], off
	;; [unrolled: 2-line block ×5, first 2 shown]
.LBB0_17:
	s_endpgm
	.section	.rodata,"a",@progbits
	.p2align	6, 0x0
	.amdhsa_kernel fft_rtc_back_len825_factors_11_5_5_3_wgs_55_tpt_55_dp_op_CI_CI_unitstride_sbrr_dirReg
		.amdhsa_group_segment_fixed_size 0
		.amdhsa_private_segment_fixed_size 0
		.amdhsa_kernarg_size 104
		.amdhsa_user_sgpr_count 6
		.amdhsa_user_sgpr_private_segment_buffer 1
		.amdhsa_user_sgpr_dispatch_ptr 0
		.amdhsa_user_sgpr_queue_ptr 0
		.amdhsa_user_sgpr_kernarg_segment_ptr 1
		.amdhsa_user_sgpr_dispatch_id 0
		.amdhsa_user_sgpr_flat_scratch_init 0
		.amdhsa_user_sgpr_private_segment_size 0
		.amdhsa_wavefront_size32 1
		.amdhsa_uses_dynamic_stack 0
		.amdhsa_system_sgpr_private_segment_wavefront_offset 0
		.amdhsa_system_sgpr_workgroup_id_x 1
		.amdhsa_system_sgpr_workgroup_id_y 0
		.amdhsa_system_sgpr_workgroup_id_z 0
		.amdhsa_system_sgpr_workgroup_info 0
		.amdhsa_system_vgpr_workitem_id 0
		.amdhsa_next_free_vgpr 186
		.amdhsa_next_free_sgpr 38
		.amdhsa_reserve_vcc 1
		.amdhsa_reserve_flat_scratch 0
		.amdhsa_float_round_mode_32 0
		.amdhsa_float_round_mode_16_64 0
		.amdhsa_float_denorm_mode_32 3
		.amdhsa_float_denorm_mode_16_64 3
		.amdhsa_dx10_clamp 1
		.amdhsa_ieee_mode 1
		.amdhsa_fp16_overflow 0
		.amdhsa_workgroup_processor_mode 1
		.amdhsa_memory_ordered 1
		.amdhsa_forward_progress 0
		.amdhsa_shared_vgpr_count 0
		.amdhsa_exception_fp_ieee_invalid_op 0
		.amdhsa_exception_fp_denorm_src 0
		.amdhsa_exception_fp_ieee_div_zero 0
		.amdhsa_exception_fp_ieee_overflow 0
		.amdhsa_exception_fp_ieee_underflow 0
		.amdhsa_exception_fp_ieee_inexact 0
		.amdhsa_exception_int_div_zero 0
	.end_amdhsa_kernel
	.text
.Lfunc_end0:
	.size	fft_rtc_back_len825_factors_11_5_5_3_wgs_55_tpt_55_dp_op_CI_CI_unitstride_sbrr_dirReg, .Lfunc_end0-fft_rtc_back_len825_factors_11_5_5_3_wgs_55_tpt_55_dp_op_CI_CI_unitstride_sbrr_dirReg
                                        ; -- End function
	.section	.AMDGPU.csdata,"",@progbits
; Kernel info:
; codeLenInByte = 14380
; NumSgprs: 40
; NumVgprs: 186
; ScratchSize: 0
; MemoryBound: 0
; FloatMode: 240
; IeeeMode: 1
; LDSByteSize: 0 bytes/workgroup (compile time only)
; SGPRBlocks: 4
; VGPRBlocks: 23
; NumSGPRsForWavesPerEU: 40
; NumVGPRsForWavesPerEU: 186
; Occupancy: 5
; WaveLimiterHint : 1
; COMPUTE_PGM_RSRC2:SCRATCH_EN: 0
; COMPUTE_PGM_RSRC2:USER_SGPR: 6
; COMPUTE_PGM_RSRC2:TRAP_HANDLER: 0
; COMPUTE_PGM_RSRC2:TGID_X_EN: 1
; COMPUTE_PGM_RSRC2:TGID_Y_EN: 0
; COMPUTE_PGM_RSRC2:TGID_Z_EN: 0
; COMPUTE_PGM_RSRC2:TIDIG_COMP_CNT: 0
	.text
	.p2alignl 6, 3214868480
	.fill 48, 4, 3214868480
	.type	__hip_cuid_7a388126461fb76b,@object ; @__hip_cuid_7a388126461fb76b
	.section	.bss,"aw",@nobits
	.globl	__hip_cuid_7a388126461fb76b
__hip_cuid_7a388126461fb76b:
	.byte	0                               ; 0x0
	.size	__hip_cuid_7a388126461fb76b, 1

	.ident	"AMD clang version 19.0.0git (https://github.com/RadeonOpenCompute/llvm-project roc-6.4.0 25133 c7fe45cf4b819c5991fe208aaa96edf142730f1d)"
	.section	".note.GNU-stack","",@progbits
	.addrsig
	.addrsig_sym __hip_cuid_7a388126461fb76b
	.amdgpu_metadata
---
amdhsa.kernels:
  - .args:
      - .actual_access:  read_only
        .address_space:  global
        .offset:         0
        .size:           8
        .value_kind:     global_buffer
      - .offset:         8
        .size:           8
        .value_kind:     by_value
      - .actual_access:  read_only
        .address_space:  global
        .offset:         16
        .size:           8
        .value_kind:     global_buffer
      - .actual_access:  read_only
        .address_space:  global
        .offset:         24
        .size:           8
        .value_kind:     global_buffer
      - .actual_access:  read_only
        .address_space:  global
        .offset:         32
        .size:           8
        .value_kind:     global_buffer
      - .offset:         40
        .size:           8
        .value_kind:     by_value
      - .actual_access:  read_only
        .address_space:  global
        .offset:         48
        .size:           8
        .value_kind:     global_buffer
      - .actual_access:  read_only
        .address_space:  global
        .offset:         56
        .size:           8
        .value_kind:     global_buffer
      - .offset:         64
        .size:           4
        .value_kind:     by_value
      - .actual_access:  read_only
        .address_space:  global
        .offset:         72
        .size:           8
        .value_kind:     global_buffer
      - .actual_access:  read_only
        .address_space:  global
        .offset:         80
        .size:           8
        .value_kind:     global_buffer
      - .actual_access:  read_only
        .address_space:  global
        .offset:         88
        .size:           8
        .value_kind:     global_buffer
      - .actual_access:  write_only
        .address_space:  global
        .offset:         96
        .size:           8
        .value_kind:     global_buffer
    .group_segment_fixed_size: 0
    .kernarg_segment_align: 8
    .kernarg_segment_size: 104
    .language:       OpenCL C
    .language_version:
      - 2
      - 0
    .max_flat_workgroup_size: 55
    .name:           fft_rtc_back_len825_factors_11_5_5_3_wgs_55_tpt_55_dp_op_CI_CI_unitstride_sbrr_dirReg
    .private_segment_fixed_size: 0
    .sgpr_count:     40
    .sgpr_spill_count: 0
    .symbol:         fft_rtc_back_len825_factors_11_5_5_3_wgs_55_tpt_55_dp_op_CI_CI_unitstride_sbrr_dirReg.kd
    .uniform_work_group_size: 1
    .uses_dynamic_stack: false
    .vgpr_count:     186
    .vgpr_spill_count: 0
    .wavefront_size: 32
    .workgroup_processor_mode: 1
amdhsa.target:   amdgcn-amd-amdhsa--gfx1030
amdhsa.version:
  - 1
  - 2
...

	.end_amdgpu_metadata
